;; amdgpu-corpus repo=ROCm/rocFFT kind=compiled arch=gfx906 opt=O3
	.text
	.amdgcn_target "amdgcn-amd-amdhsa--gfx906"
	.amdhsa_code_object_version 6
	.protected	fft_rtc_back_len2160_factors_10_6_6_6_wgs_60_tpt_60_halfLds_half_op_CI_CI_unitstride_sbrr_dirReg ; -- Begin function fft_rtc_back_len2160_factors_10_6_6_6_wgs_60_tpt_60_halfLds_half_op_CI_CI_unitstride_sbrr_dirReg
	.globl	fft_rtc_back_len2160_factors_10_6_6_6_wgs_60_tpt_60_halfLds_half_op_CI_CI_unitstride_sbrr_dirReg
	.p2align	8
	.type	fft_rtc_back_len2160_factors_10_6_6_6_wgs_60_tpt_60_halfLds_half_op_CI_CI_unitstride_sbrr_dirReg,@function
fft_rtc_back_len2160_factors_10_6_6_6_wgs_60_tpt_60_halfLds_half_op_CI_CI_unitstride_sbrr_dirReg: ; @fft_rtc_back_len2160_factors_10_6_6_6_wgs_60_tpt_60_halfLds_half_op_CI_CI_unitstride_sbrr_dirReg
; %bb.0:
	s_load_dwordx4 s[8:11], s[4:5], 0x58
	s_load_dwordx4 s[12:15], s[4:5], 0x0
	;; [unrolled: 1-line block ×3, first 2 shown]
	v_mul_u32_u24_e32 v1, 0x445, v0
	v_mov_b32_e32 v7, 0
	v_mov_b32_e32 v5, 0
	s_waitcnt lgkmcnt(0)
	v_cmp_lt_u64_e64 s[0:1], s[14:15], 2
	v_add_u32_sdwa v9, s6, v1 dst_sel:DWORD dst_unused:UNUSED_PAD src0_sel:DWORD src1_sel:WORD_1
	v_mov_b32_e32 v10, v7
	s_and_b64 vcc, exec, s[0:1]
	v_mov_b32_e32 v6, 0
	s_cbranch_vccnz .LBB0_8
; %bb.1:
	s_load_dwordx2 s[0:1], s[4:5], 0x10
	s_add_u32 s2, s18, 8
	s_addc_u32 s3, s19, 0
	s_add_u32 s6, s16, 8
	s_addc_u32 s7, s17, 0
	v_mov_b32_e32 v5, 0
	s_waitcnt lgkmcnt(0)
	s_add_u32 s20, s0, 8
	v_mov_b32_e32 v6, 0
	v_mov_b32_e32 v1, v5
	s_addc_u32 s21, s1, 0
	s_mov_b64 s[22:23], 1
	v_mov_b32_e32 v2, v6
.LBB0_2:                                ; =>This Inner Loop Header: Depth=1
	s_load_dwordx2 s[24:25], s[20:21], 0x0
                                        ; implicit-def: $vgpr3_vgpr4
	s_waitcnt lgkmcnt(0)
	v_or_b32_e32 v8, s25, v10
	v_cmp_ne_u64_e32 vcc, 0, v[7:8]
	s_and_saveexec_b64 s[0:1], vcc
	s_xor_b64 s[26:27], exec, s[0:1]
	s_cbranch_execz .LBB0_4
; %bb.3:                                ;   in Loop: Header=BB0_2 Depth=1
	v_cvt_f32_u32_e32 v3, s24
	v_cvt_f32_u32_e32 v4, s25
	s_sub_u32 s0, 0, s24
	s_subb_u32 s1, 0, s25
	v_mac_f32_e32 v3, 0x4f800000, v4
	v_rcp_f32_e32 v3, v3
	v_mul_f32_e32 v3, 0x5f7ffffc, v3
	v_mul_f32_e32 v4, 0x2f800000, v3
	v_trunc_f32_e32 v4, v4
	v_mac_f32_e32 v3, 0xcf800000, v4
	v_cvt_u32_f32_e32 v4, v4
	v_cvt_u32_f32_e32 v3, v3
	v_mul_lo_u32 v8, s0, v4
	v_mul_hi_u32 v11, s0, v3
	v_mul_lo_u32 v13, s1, v3
	v_mul_lo_u32 v12, s0, v3
	v_add_u32_e32 v8, v11, v8
	v_add_u32_e32 v8, v8, v13
	v_mul_hi_u32 v11, v3, v12
	v_mul_lo_u32 v13, v3, v8
	v_mul_hi_u32 v15, v3, v8
	v_mul_hi_u32 v14, v4, v12
	v_mul_lo_u32 v12, v4, v12
	v_mul_hi_u32 v16, v4, v8
	v_add_co_u32_e32 v11, vcc, v11, v13
	v_addc_co_u32_e32 v13, vcc, 0, v15, vcc
	v_mul_lo_u32 v8, v4, v8
	v_add_co_u32_e32 v11, vcc, v11, v12
	v_addc_co_u32_e32 v11, vcc, v13, v14, vcc
	v_addc_co_u32_e32 v12, vcc, 0, v16, vcc
	v_add_co_u32_e32 v8, vcc, v11, v8
	v_addc_co_u32_e32 v11, vcc, 0, v12, vcc
	v_add_co_u32_e32 v3, vcc, v3, v8
	v_addc_co_u32_e32 v4, vcc, v4, v11, vcc
	v_mul_lo_u32 v8, s0, v4
	v_mul_hi_u32 v11, s0, v3
	v_mul_lo_u32 v12, s1, v3
	v_mul_lo_u32 v13, s0, v3
	v_add_u32_e32 v8, v11, v8
	v_add_u32_e32 v8, v8, v12
	v_mul_lo_u32 v14, v3, v8
	v_mul_hi_u32 v15, v3, v13
	v_mul_hi_u32 v16, v3, v8
	v_mul_hi_u32 v12, v4, v13
	v_mul_lo_u32 v13, v4, v13
	v_mul_hi_u32 v11, v4, v8
	v_add_co_u32_e32 v14, vcc, v15, v14
	v_addc_co_u32_e32 v15, vcc, 0, v16, vcc
	v_mul_lo_u32 v8, v4, v8
	v_add_co_u32_e32 v13, vcc, v14, v13
	v_addc_co_u32_e32 v12, vcc, v15, v12, vcc
	v_addc_co_u32_e32 v11, vcc, 0, v11, vcc
	v_add_co_u32_e32 v8, vcc, v12, v8
	v_addc_co_u32_e32 v11, vcc, 0, v11, vcc
	v_add_co_u32_e32 v8, vcc, v3, v8
	v_addc_co_u32_e32 v11, vcc, v4, v11, vcc
	v_mad_u64_u32 v[3:4], s[0:1], v9, v11, 0
	v_mul_hi_u32 v12, v9, v8
	v_add_co_u32_e32 v13, vcc, v12, v3
	v_addc_co_u32_e32 v14, vcc, 0, v4, vcc
	v_mad_u64_u32 v[3:4], s[0:1], v10, v8, 0
	v_mad_u64_u32 v[11:12], s[0:1], v10, v11, 0
	v_add_co_u32_e32 v3, vcc, v13, v3
	v_addc_co_u32_e32 v3, vcc, v14, v4, vcc
	v_addc_co_u32_e32 v4, vcc, 0, v12, vcc
	v_add_co_u32_e32 v8, vcc, v3, v11
	v_addc_co_u32_e32 v11, vcc, 0, v4, vcc
	v_mul_lo_u32 v12, s25, v8
	v_mul_lo_u32 v13, s24, v11
	v_mad_u64_u32 v[3:4], s[0:1], s24, v8, 0
	v_add3_u32 v4, v4, v13, v12
	v_sub_u32_e32 v12, v10, v4
	v_mov_b32_e32 v13, s25
	v_sub_co_u32_e32 v3, vcc, v9, v3
	v_subb_co_u32_e64 v12, s[0:1], v12, v13, vcc
	v_subrev_co_u32_e64 v13, s[0:1], s24, v3
	v_subbrev_co_u32_e64 v12, s[0:1], 0, v12, s[0:1]
	v_cmp_le_u32_e64 s[0:1], s25, v12
	v_cndmask_b32_e64 v14, 0, -1, s[0:1]
	v_cmp_le_u32_e64 s[0:1], s24, v13
	v_cndmask_b32_e64 v13, 0, -1, s[0:1]
	v_cmp_eq_u32_e64 s[0:1], s25, v12
	v_cndmask_b32_e64 v12, v14, v13, s[0:1]
	v_add_co_u32_e64 v13, s[0:1], 2, v8
	v_addc_co_u32_e64 v14, s[0:1], 0, v11, s[0:1]
	v_add_co_u32_e64 v15, s[0:1], 1, v8
	v_addc_co_u32_e64 v16, s[0:1], 0, v11, s[0:1]
	v_subb_co_u32_e32 v4, vcc, v10, v4, vcc
	v_cmp_ne_u32_e64 s[0:1], 0, v12
	v_cmp_le_u32_e32 vcc, s25, v4
	v_cndmask_b32_e64 v12, v16, v14, s[0:1]
	v_cndmask_b32_e64 v14, 0, -1, vcc
	v_cmp_le_u32_e32 vcc, s24, v3
	v_cndmask_b32_e64 v3, 0, -1, vcc
	v_cmp_eq_u32_e32 vcc, s25, v4
	v_cndmask_b32_e32 v3, v14, v3, vcc
	v_cmp_ne_u32_e32 vcc, 0, v3
	v_cndmask_b32_e64 v3, v15, v13, s[0:1]
	v_cndmask_b32_e32 v4, v11, v12, vcc
	v_cndmask_b32_e32 v3, v8, v3, vcc
.LBB0_4:                                ;   in Loop: Header=BB0_2 Depth=1
	s_andn2_saveexec_b64 s[0:1], s[26:27]
	s_cbranch_execz .LBB0_6
; %bb.5:                                ;   in Loop: Header=BB0_2 Depth=1
	v_cvt_f32_u32_e32 v3, s24
	s_sub_i32 s26, 0, s24
	v_rcp_iflag_f32_e32 v3, v3
	v_mul_f32_e32 v3, 0x4f7ffffe, v3
	v_cvt_u32_f32_e32 v3, v3
	v_mul_lo_u32 v4, s26, v3
	v_mul_hi_u32 v4, v3, v4
	v_add_u32_e32 v3, v3, v4
	v_mul_hi_u32 v3, v9, v3
	v_mul_lo_u32 v4, v3, s24
	v_add_u32_e32 v8, 1, v3
	v_sub_u32_e32 v4, v9, v4
	v_subrev_u32_e32 v11, s24, v4
	v_cmp_le_u32_e32 vcc, s24, v4
	v_cndmask_b32_e32 v4, v4, v11, vcc
	v_cndmask_b32_e32 v3, v3, v8, vcc
	v_add_u32_e32 v8, 1, v3
	v_cmp_le_u32_e32 vcc, s24, v4
	v_cndmask_b32_e32 v3, v3, v8, vcc
	v_mov_b32_e32 v4, v7
.LBB0_6:                                ;   in Loop: Header=BB0_2 Depth=1
	s_or_b64 exec, exec, s[0:1]
	v_mul_lo_u32 v8, v4, s24
	v_mul_lo_u32 v13, v3, s25
	v_mad_u64_u32 v[11:12], s[0:1], v3, s24, 0
	s_load_dwordx2 s[0:1], s[6:7], 0x0
	s_load_dwordx2 s[24:25], s[2:3], 0x0
	v_add3_u32 v8, v12, v13, v8
	v_sub_co_u32_e32 v9, vcc, v9, v11
	v_subb_co_u32_e32 v8, vcc, v10, v8, vcc
	s_waitcnt lgkmcnt(0)
	v_mul_lo_u32 v10, s0, v8
	v_mul_lo_u32 v11, s1, v9
	v_mad_u64_u32 v[5:6], s[0:1], s0, v9, v[5:6]
	v_mul_lo_u32 v8, s24, v8
	v_mul_lo_u32 v12, s25, v9
	v_mad_u64_u32 v[1:2], s[0:1], s24, v9, v[1:2]
	s_add_u32 s22, s22, 1
	s_addc_u32 s23, s23, 0
	s_add_u32 s2, s2, 8
	v_add3_u32 v2, v12, v2, v8
	s_addc_u32 s3, s3, 0
	v_mov_b32_e32 v8, s14
	s_add_u32 s6, s6, 8
	v_mov_b32_e32 v9, s15
	s_addc_u32 s7, s7, 0
	v_cmp_ge_u64_e32 vcc, s[22:23], v[8:9]
	s_add_u32 s20, s20, 8
	v_add3_u32 v6, v11, v6, v10
	s_addc_u32 s21, s21, 0
	s_cbranch_vccnz .LBB0_9
; %bb.7:                                ;   in Loop: Header=BB0_2 Depth=1
	v_mov_b32_e32 v10, v4
	v_mov_b32_e32 v9, v3
	s_branch .LBB0_2
.LBB0_8:
	v_mov_b32_e32 v1, v5
	v_mov_b32_e32 v3, v9
	;; [unrolled: 1-line block ×4, first 2 shown]
.LBB0_9:
	s_load_dwordx2 s[4:5], s[4:5], 0x28
	s_lshl_b64 s[6:7], s[14:15], 3
	s_add_u32 s2, s18, s6
	s_addc_u32 s3, s19, s7
                                        ; implicit-def: $vgpr9
	s_waitcnt lgkmcnt(0)
	v_cmp_gt_u64_e64 s[0:1], s[4:5], v[3:4]
	v_cmp_le_u64_e32 vcc, s[4:5], v[3:4]
	s_and_saveexec_b64 s[4:5], vcc
	s_xor_b64 s[4:5], exec, s[4:5]
; %bb.10:
	s_mov_b32 s14, 0x4444445
	v_mul_hi_u32 v5, v0, s14
	v_mul_u32_u24_e32 v5, 60, v5
	v_sub_u32_e32 v9, v0, v5
                                        ; implicit-def: $vgpr0
                                        ; implicit-def: $vgpr5_vgpr6
; %bb.11:
	s_or_saveexec_b64 s[4:5], s[4:5]
	s_load_dwordx2 s[2:3], s[2:3], 0x0
                                        ; implicit-def: $vgpr17
                                        ; implicit-def: $vgpr44
                                        ; implicit-def: $vgpr22
                                        ; implicit-def: $vgpr23
                                        ; implicit-def: $vgpr16
                                        ; implicit-def: $vgpr40
                                        ; implicit-def: $vgpr21
                                        ; implicit-def: $vgpr13
                                        ; implicit-def: $vgpr15
                                        ; implicit-def: $vgpr39
                                        ; implicit-def: $vgpr20
                                        ; implicit-def: $vgpr11
                                        ; implicit-def: $vgpr14
                                        ; implicit-def: $vgpr38
                                        ; implicit-def: $vgpr18
                                        ; implicit-def: $vgpr10
                                        ; implicit-def: $vgpr12
                                        ; implicit-def: $vgpr33
                                        ; implicit-def: $vgpr19
                                        ; implicit-def: $vgpr34
                                        ; implicit-def: $vgpr7
                                        ; implicit-def: $vgpr67
                                        ; implicit-def: $vgpr45
                                        ; implicit-def: $vgpr26
                                        ; implicit-def: $vgpr8
                                        ; implicit-def: $vgpr71
                                        ; implicit-def: $vgpr46
                                        ; implicit-def: $vgpr25
                                        ; implicit-def: $vgpr41
                                        ; implicit-def: $vgpr73
                                        ; implicit-def: $vgpr47
                                        ; implicit-def: $vgpr24
                                        ; implicit-def: $vgpr42
                                        ; implicit-def: $vgpr72
                                        ; implicit-def: $vgpr48
                                        ; implicit-def: $vgpr27
                                        ; implicit-def: $vgpr43
                                        ; implicit-def: $vgpr74
                                        ; implicit-def: $vgpr49
                                        ; implicit-def: $vgpr75
                                        ; implicit-def: $vgpr50
                                        ; implicit-def: $vgpr78
                                        ; implicit-def: $vgpr55
                                        ; implicit-def: $vgpr28
                                        ; implicit-def: $vgpr51
                                        ; implicit-def: $vgpr80
                                        ; implicit-def: $vgpr56
                                        ; implicit-def: $vgpr29
                                        ; implicit-def: $vgpr52
                                        ; implicit-def: $vgpr76
                                        ; implicit-def: $vgpr57
                                        ; implicit-def: $vgpr30
                                        ; implicit-def: $vgpr53
                                        ; implicit-def: $vgpr77
                                        ; implicit-def: $vgpr58
                                        ; implicit-def: $vgpr31
                                        ; implicit-def: $vgpr54
                                        ; implicit-def: $vgpr79
                                        ; implicit-def: $vgpr59
                                        ; implicit-def: $vgpr81
                                        ; implicit-def: $vgpr60
                                        ; implicit-def: $vgpr84
                                        ; implicit-def: $vgpr65
                                        ; implicit-def: $vgpr32
                                        ; implicit-def: $vgpr61
                                        ; implicit-def: $vgpr83
                                        ; implicit-def: $vgpr66
                                        ; implicit-def: $vgpr37
                                        ; implicit-def: $vgpr62
                                        ; implicit-def: $vgpr82
                                        ; implicit-def: $vgpr68
                                        ; implicit-def: $vgpr35
                                        ; implicit-def: $vgpr63
                                        ; implicit-def: $vgpr85
                                        ; implicit-def: $vgpr69
                                        ; implicit-def: $vgpr36
                                        ; implicit-def: $vgpr64
                                        ; implicit-def: $vgpr87
                                        ; implicit-def: $vgpr70
                                        ; implicit-def: $vgpr86
	s_xor_b64 exec, exec, s[4:5]
	s_cbranch_execz .LBB0_15
; %bb.12:
	s_add_u32 s6, s16, s6
	s_addc_u32 s7, s17, s7
	s_load_dwordx2 s[6:7], s[6:7], 0x0
	s_mov_b32 s14, 0x4444445
	v_mul_hi_u32 v9, v0, s14
	v_lshlrev_b64 v[5:6], 2, v[5:6]
                                        ; implicit-def: $vgpr34
                                        ; implicit-def: $vgpr19
                                        ; implicit-def: $vgpr33
                                        ; implicit-def: $vgpr18
                                        ; implicit-def: $vgpr38
                                        ; implicit-def: $vgpr14
                                        ; implicit-def: $vgpr20
                                        ; implicit-def: $vgpr39
                                        ; implicit-def: $vgpr15
                                        ; implicit-def: $vgpr21
                                        ; implicit-def: $vgpr40
                                        ; implicit-def: $vgpr16
                                        ; implicit-def: $vgpr23
                                        ; implicit-def: $vgpr22
                                        ; implicit-def: $vgpr44
                                        ; implicit-def: $vgpr17
	s_waitcnt lgkmcnt(0)
	v_mul_lo_u32 v10, s7, v3
	v_mul_lo_u32 v11, s6, v4
	v_mad_u64_u32 v[7:8], s[6:7], s6, v3, 0
	v_mul_u32_u24_e32 v9, 60, v9
	v_sub_u32_e32 v9, v0, v9
	v_add3_u32 v8, v8, v11, v10
	v_lshlrev_b64 v[7:8], 2, v[7:8]
	v_mov_b32_e32 v0, s9
	v_add_co_u32_e32 v7, vcc, s8, v7
	v_addc_co_u32_e32 v0, vcc, v0, v8, vcc
	v_add_co_u32_e32 v10, vcc, v7, v5
	v_addc_co_u32_e32 v0, vcc, v0, v6, vcc
	v_lshlrev_b32_e32 v11, 2, v9
	v_add_co_u32_e32 v5, vcc, v10, v11
	v_addc_co_u32_e32 v6, vcc, 0, v0, vcc
	s_movk_i32 s6, 0x1000
	v_add_co_u32_e32 v7, vcc, s6, v5
	v_addc_co_u32_e32 v8, vcc, 0, v6, vcc
	v_or_b32_e32 v11, 0x1b00, v11
	v_add_co_u32_e32 v10, vcc, v10, v11
	v_addc_co_u32_e32 v11, vcc, 0, v0, vcc
	v_add_co_u32_e32 v12, vcc, 0x2000, v5
	v_addc_co_u32_e32 v13, vcc, 0, v6, vcc
	global_load_dword v86, v[5:6], off
	global_load_dword v81, v[5:6], off offset:240
	global_load_dword v79, v[5:6], off offset:1104
	;; [unrolled: 1-line block ×9, first 2 shown]
	global_load_dword v32, v[10:11], off
	global_load_dword v78, v[7:8], off offset:3920
	global_load_dword v36, v[5:6], off offset:1728
	global_load_dword v74, v[5:6], off offset:1344
	global_load_dword v87, v[5:6], off offset:864
	global_load_dword v75, v[5:6], off offset:480
	global_load_dword v82, v[7:8], off offset:224
	global_load_dword v24, v[5:6], off offset:3936
	global_load_dword v35, v[5:6], off offset:3456
	global_load_dword v72, v[5:6], off offset:3072
	global_load_dword v85, v[5:6], off offset:2592
	global_load_dword v27, v[5:6], off offset:2208
	global_load_dword v80, v[7:8], off offset:2192
	global_load_dword v71, v[7:8], off offset:2432
                                        ; kill: killed $vgpr12 killed $vgpr13
                                        ; kill: killed $vgpr10 killed $vgpr11
	global_load_dword v83, v[7:8], off offset:1952
	global_load_dword v25, v[7:8], off offset:1568
	;; [unrolled: 1-line block ×6, first 2 shown]
	v_cmp_gt_u32_e32 vcc, 36, v9
                                        ; implicit-def: $vgpr12
                                        ; implicit-def: $vgpr10
                                        ; implicit-def: $vgpr11
                                        ; implicit-def: $vgpr13
	s_and_saveexec_b64 s[6:7], vcc
	s_cbranch_execz .LBB0_14
; %bb.13:
	global_load_dword v34, v[5:6], off offset:720
	global_load_dword v33, v[5:6], off offset:1584
	;; [unrolled: 1-line block ×8, first 2 shown]
	v_add_co_u32_e32 v5, vcc, 0x2000, v5
	v_addc_co_u32_e32 v6, vcc, 0, v6, vcc
	global_load_dword v23, v[7:8], off offset:3536
	global_load_dword v44, v[5:6], off offset:304
	s_waitcnt vmcnt(9)
	v_lshrrev_b32_e32 v19, 16, v34
	s_waitcnt vmcnt(8)
	v_lshrrev_b32_e32 v12, 16, v33
	;; [unrolled: 2-line block ×10, first 2 shown]
.LBB0_14:
	s_or_b64 exec, exec, s[6:7]
	s_waitcnt vmcnt(29)
	v_lshrrev_b32_e32 v70, 16, v86
	s_waitcnt vmcnt(15)
	v_lshrrev_b32_e32 v64, 16, v87
	v_lshrrev_b32_e32 v69, 16, v36
	s_waitcnt vmcnt(9)
	v_lshrrev_b32_e32 v63, 16, v85
	v_lshrrev_b32_e32 v68, 16, v35
	v_lshrrev_b32_e32 v62, 16, v82
	s_waitcnt vmcnt(3)
	v_lshrrev_b32_e32 v66, 16, v37
	;; [unrolled: 4-line block ×3, first 2 shown]
	v_lshrrev_b32_e32 v59, 16, v81
	v_lshrrev_b32_e32 v54, 16, v79
	;; [unrolled: 1-line block ×18, first 2 shown]
	s_waitcnt vmcnt(0)
	v_lshrrev_b32_e32 v45, 16, v26
	v_lshrrev_b32_e32 v7, 16, v67
.LBB0_15:
	s_or_b64 exec, exec, s[4:5]
	v_add_f16_e32 v0, v36, v86
	v_add_f16_e32 v0, v35, v0
	;; [unrolled: 1-line block ×5, first 2 shown]
	v_fma_f16 v0, v0, -0.5, v86
	v_sub_f16_e32 v5, v69, v65
	s_mov_b32 s14, 0xbb9c
	s_movk_i32 s7, 0x3b9c
	v_fma_f16 v88, v5, s14, v0
	v_sub_f16_e32 v89, v68, v66
	s_mov_b32 s9, 0xb8b4
	v_sub_f16_e32 v90, v36, v35
	v_sub_f16_e32 v91, v32, v37
	v_fma_f16 v0, v5, s7, v0
	s_movk_i32 s6, 0x38b4
	v_fma_f16 v88, v89, s9, v88
	v_add_f16_e32 v90, v91, v90
	s_movk_i32 s8, 0x34f2
	v_fma_f16 v0, v89, s6, v0
	v_fma_f16 v88, v90, s8, v88
	;; [unrolled: 1-line block ×3, first 2 shown]
	v_add_f16_e32 v0, v32, v36
	v_fma_f16 v0, v0, -0.5, v86
	v_fma_f16 v86, v89, s7, v0
	v_sub_f16_e32 v91, v35, v36
	v_sub_f16_e32 v92, v37, v32
	v_fma_f16 v0, v89, s14, v0
	v_add_f16_e32 v91, v92, v91
	v_fma_f16 v0, v5, s6, v0
	v_fma_f16 v89, v91, s8, v0
	v_add_f16_e32 v0, v85, v87
	v_add_f16_e32 v0, v82, v0
	v_fma_f16 v86, v5, s9, v86
	v_add_f16_e32 v0, v83, v0
	v_fma_f16 v92, v91, s8, v86
	v_add_f16_e32 v91, v84, v0
	v_add_f16_e32 v0, v83, v82
	v_fma_f16 v0, v0, -0.5, v87
	v_sub_f16_e32 v86, v63, v60
	v_fma_f16 v5, v86, s14, v0
	v_sub_f16_e32 v93, v62, v61
	v_sub_f16_e32 v94, v85, v82
	;; [unrolled: 1-line block ×3, first 2 shown]
	v_fma_f16 v0, v86, s7, v0
	v_fma_f16 v5, v93, s9, v5
	v_add_f16_e32 v94, v95, v94
	v_fma_f16 v0, v93, s6, v0
	v_fma_f16 v5, v94, s8, v5
	;; [unrolled: 1-line block ×3, first 2 shown]
	v_add_f16_e32 v94, v84, v85
	v_fma_f16 v94, v94, -0.5, v87
	v_fma_f16 v87, v93, s7, v94
	v_fma_f16 v93, v93, s14, v94
	;; [unrolled: 1-line block ×4, first 2 shown]
	v_add_f16_e32 v93, v61, v62
	v_sub_f16_e32 v95, v82, v85
	v_fma_f16 v93, v93, -0.5, v64
	v_sub_f16_e32 v85, v85, v84
	v_sub_f16_e32 v96, v83, v84
	v_fma_f16 v84, v85, s7, v93
	v_sub_f16_e32 v94, v82, v83
	v_fma_f16 v82, v94, s6, v84
	v_sub_f16_e32 v83, v63, v62
	v_sub_f16_e32 v84, v60, v61
	v_add_f16_e32 v84, v84, v83
	v_fma_f16 v83, v84, s8, v82
	v_fma_f16 v82, v85, s14, v93
	;; [unrolled: 1-line block ×4, first 2 shown]
	v_add_f16_e32 v84, v60, v63
	v_add_f16_e32 v95, v96, v95
	v_fma_f16 v93, v84, -0.5, v64
	v_fma_f16 v87, v95, s8, v87
	v_fma_f16 v86, v95, s8, v86
	;; [unrolled: 1-line block ×3, first 2 shown]
	v_sub_f16_e32 v95, v62, v63
	v_sub_f16_e32 v96, v61, v60
	v_fma_f16 v93, v94, s7, v93
	v_fma_f16 v84, v85, s6, v84
	v_add_f16_e32 v95, v96, v95
	v_fma_f16 v85, v85, s9, v93
	v_fma_f16 v85, v95, s8, v85
	v_mul_f16_e32 v93, 0xb8b4, v83
	s_movk_i32 s15, 0x3a79
	v_fma_f16 v84, v95, s8, v84
	v_fma_f16 v93, v5, s15, v93
	v_mul_f16_e32 v95, 0xbb9c, v85
	s_mov_b32 s16, 0xb4f2
	v_add_f16_e32 v98, v88, v93
	v_mul_f16_e32 v94, 0xbb9c, v84
	v_fma_f16 v95, v86, s16, v95
	v_mul_f16_e32 v96, 0xb8b4, v82
	s_mov_b32 s17, 0xba79
	v_sub_f16_e32 v106, v88, v93
	v_add_f16_e32 v88, v29, v30
	v_fma_f16 v94, v87, s8, v94
	v_add_f16_e32 v101, v89, v95
	v_fma_f16 v96, v0, s17, v96
	v_sub_f16_e32 v108, v89, v95
	v_fma_f16 v88, v88, -0.5, v81
	v_sub_f16_e32 v89, v58, v55
	v_add_f16_e32 v97, v91, v6
	v_add_f16_e32 v100, v92, v94
	;; [unrolled: 1-line block ×3, first 2 shown]
	v_sub_f16_e32 v105, v6, v91
	v_sub_f16_e32 v107, v92, v94
	;; [unrolled: 1-line block ×3, first 2 shown]
	v_fma_f16 v90, v89, s14, v88
	v_sub_f16_e32 v91, v57, v56
	v_sub_f16_e32 v92, v31, v30
	v_sub_f16_e32 v93, v28, v29
	v_fma_f16 v88, v89, s7, v88
	v_fma_f16 v90, v91, s9, v90
	v_add_f16_e32 v92, v93, v92
	v_fma_f16 v88, v91, s6, v88
	v_fma_f16 v93, v92, s8, v90
	v_fma_f16 v92, v92, s8, v88
	v_add_f16_e32 v88, v28, v31
	v_add_f16_e32 v6, v31, v81
	v_fma_f16 v81, v88, -0.5, v81
	v_fma_f16 v88, v91, s7, v81
	v_sub_f16_e32 v90, v30, v31
	v_sub_f16_e32 v94, v29, v28
	v_fma_f16 v81, v91, s14, v81
	v_add_f16_e32 v90, v94, v90
	v_fma_f16 v81, v89, s6, v81
	v_fma_f16 v91, v90, s8, v81
	v_add_f16_e32 v81, v77, v79
	v_add_f16_e32 v81, v76, v81
	;; [unrolled: 1-line block ×3, first 2 shown]
	v_fma_f16 v88, v89, s9, v88
	v_add_f16_e32 v95, v78, v81
	v_add_f16_e32 v81, v80, v76
	v_fma_f16 v94, v90, s8, v88
	v_fma_f16 v81, v81, -0.5, v79
	v_sub_f16_e32 v90, v53, v50
	v_fma_f16 v88, v90, s14, v81
	v_sub_f16_e32 v96, v52, v51
	v_sub_f16_e32 v89, v77, v76
	;; [unrolled: 1-line block ×3, first 2 shown]
	v_fma_f16 v81, v90, s7, v81
	v_fma_f16 v88, v96, s9, v88
	v_add_f16_e32 v89, v99, v89
	v_fma_f16 v81, v96, s6, v81
	v_fma_f16 v88, v89, s8, v88
	;; [unrolled: 1-line block ×3, first 2 shown]
	v_add_f16_e32 v89, v78, v77
	v_fma_f16 v79, v89, -0.5, v79
	v_fma_f16 v89, v96, s7, v79
	v_fma_f16 v79, v96, s14, v79
	v_fma_f16 v89, v90, s9, v89
	v_fma_f16 v79, v90, s6, v79
	v_add_f16_e32 v90, v51, v52
	v_fma_f16 v90, v90, -0.5, v54
	v_sub_f16_e32 v96, v77, v78
	v_sub_f16_e32 v99, v76, v77
	;; [unrolled: 1-line block ×3, first 2 shown]
	v_fma_f16 v77, v96, s7, v90
	v_sub_f16_e32 v76, v76, v80
	v_sub_f16_e32 v78, v53, v52
	;; [unrolled: 1-line block ×3, first 2 shown]
	v_fma_f16 v77, v76, s6, v77
	v_add_f16_e32 v80, v80, v78
	v_fma_f16 v78, v80, s8, v77
	v_fma_f16 v77, v96, s14, v90
	;; [unrolled: 1-line block ×4, first 2 shown]
	v_add_f16_e32 v80, v50, v53
	v_add_f16_e32 v99, v102, v99
	v_fma_f16 v90, v80, -0.5, v54
	v_fma_f16 v89, v99, s8, v89
	v_fma_f16 v79, v99, s8, v79
	;; [unrolled: 1-line block ×3, first 2 shown]
	v_sub_f16_e32 v99, v52, v53
	v_sub_f16_e32 v102, v51, v50
	v_fma_f16 v76, v76, s7, v90
	v_add_f16_e32 v99, v102, v99
	v_fma_f16 v76, v96, s9, v76
	v_fma_f16 v80, v96, s6, v80
	;; [unrolled: 1-line block ×3, first 2 shown]
	v_mul_f16_e32 v76, 0xb8b4, v78
	v_add_f16_e32 v6, v30, v6
	v_fma_f16 v80, v99, s8, v80
	v_fma_f16 v76, v88, s15, v76
	v_mul_f16_e32 v99, 0xbb9c, v90
	v_add_f16_e32 v6, v29, v6
	v_add_f16_e32 v111, v93, v76
	v_mul_f16_e32 v96, 0xbb9c, v80
	v_fma_f16 v99, v79, s16, v99
	v_mul_f16_e32 v102, 0xb8b4, v77
	v_sub_f16_e32 v116, v93, v76
	v_add_f16_e32 v76, v25, v24
	v_add_f16_e32 v6, v28, v6
	v_fma_f16 v96, v89, s8, v96
	v_add_f16_e32 v113, v91, v99
	v_fma_f16 v102, v81, s17, v102
	v_sub_f16_e32 v118, v91, v99
	v_fma_f16 v76, v76, -0.5, v75
	v_sub_f16_e32 v91, v48, v45
	v_add_f16_e32 v110, v95, v6
	v_add_f16_e32 v112, v94, v96
	;; [unrolled: 1-line block ×3, first 2 shown]
	v_sub_f16_e32 v115, v6, v95
	v_sub_f16_e32 v117, v94, v96
	;; [unrolled: 1-line block ×3, first 2 shown]
	v_fma_f16 v92, v91, s14, v76
	v_sub_f16_e32 v93, v47, v46
	v_sub_f16_e32 v94, v27, v24
	;; [unrolled: 1-line block ×3, first 2 shown]
	v_fma_f16 v76, v91, s7, v76
	v_fma_f16 v92, v93, s9, v92
	v_add_f16_e32 v94, v95, v94
	v_fma_f16 v76, v93, s6, v76
	v_fma_f16 v92, v94, s8, v92
	;; [unrolled: 1-line block ×3, first 2 shown]
	v_add_f16_e32 v94, v26, v27
	v_add_f16_e32 v6, v27, v75
	v_fma_f16 v75, v94, -0.5, v75
	v_fma_f16 v94, v93, s7, v75
	v_fma_f16 v75, v93, s14, v75
	;; [unrolled: 1-line block ×4, first 2 shown]
	v_add_f16_e32 v91, v72, v74
	v_add_f16_e32 v91, v73, v91
	v_sub_f16_e32 v95, v24, v27
	v_sub_f16_e32 v96, v25, v26
	v_add_f16_e32 v91, v71, v91
	v_add_f16_e32 v95, v96, v95
	;; [unrolled: 1-line block ×4, first 2 shown]
	v_fma_f16 v120, v95, s8, v94
	v_fma_f16 v91, v91, -0.5, v74
	v_sub_f16_e32 v94, v42, v7
	v_fma_f16 v75, v95, s8, v75
	v_fma_f16 v93, v94, s14, v91
	v_sub_f16_e32 v96, v41, v8
	v_sub_f16_e32 v95, v72, v73
	;; [unrolled: 1-line block ×3, first 2 shown]
	v_fma_f16 v91, v94, s7, v91
	v_fma_f16 v93, v96, s9, v93
	v_add_f16_e32 v95, v99, v95
	v_fma_f16 v91, v96, s6, v91
	v_fma_f16 v93, v95, s8, v93
	;; [unrolled: 1-line block ×3, first 2 shown]
	v_add_f16_e32 v95, v67, v72
	v_fma_f16 v74, v95, -0.5, v74
	v_fma_f16 v95, v96, s7, v74
	v_sub_f16_e32 v99, v73, v72
	v_sub_f16_e32 v102, v71, v67
	v_fma_f16 v74, v96, s14, v74
	v_add_f16_e32 v99, v102, v99
	v_fma_f16 v74, v94, s6, v74
	v_fma_f16 v95, v94, s9, v95
	;; [unrolled: 1-line block ×3, first 2 shown]
	v_add_f16_e32 v74, v8, v41
	v_fma_f16 v74, v74, -0.5, v43
	v_sub_f16_e32 v67, v72, v67
	v_fma_f16 v72, v67, s7, v74
	v_sub_f16_e32 v71, v73, v71
	v_sub_f16_e32 v73, v42, v41
	;; [unrolled: 1-line block ×3, first 2 shown]
	v_fma_f16 v72, v71, s6, v72
	v_add_f16_e32 v73, v96, v73
	v_fma_f16 v95, v99, s8, v95
	v_fma_f16 v99, v73, s8, v72
	;; [unrolled: 1-line block ×5, first 2 shown]
	v_add_f16_e32 v72, v7, v42
	v_fma_f16 v72, v72, -0.5, v43
	v_fma_f16 v73, v71, s14, v72
	v_sub_f16_e32 v74, v41, v42
	v_sub_f16_e32 v102, v8, v7
	v_add_f16_e32 v6, v24, v6
	v_fma_f16 v73, v67, s6, v73
	v_add_f16_e32 v74, v102, v74
	v_fma_f16 v71, v71, s7, v72
	;; [unrolled: 2-line block ×3, first 2 shown]
	v_fma_f16 v67, v67, s9, v71
	v_add_f16_e32 v6, v26, v6
	v_fma_f16 v103, v74, s8, v67
	v_mul_f16_e32 v71, 0xbb9c, v102
	v_add_f16_e32 v122, v121, v6
	v_mul_f16_e32 v67, 0xb8b4, v99
	v_fma_f16 v71, v95, s8, v71
	v_mul_f16_e32 v72, 0xbb9c, v103
	v_mul_f16_e32 v73, 0xb8b4, v96
	v_sub_f16_e32 v121, v6, v121
	v_add_f16_e32 v6, v40, v39
	v_fma_f16 v67, v93, s15, v67
	v_add_f16_e32 v124, v120, v71
	v_fma_f16 v72, v94, s16, v72
	v_fma_f16 v73, v91, s17, v73
	v_sub_f16_e32 v120, v120, v71
	v_fma_f16 v6, v6, -0.5, v33
	v_sub_f16_e32 v71, v14, v17
	v_add_f16_e32 v123, v92, v67
	v_add_f16_e32 v125, v75, v72
	;; [unrolled: 1-line block ×3, first 2 shown]
	v_sub_f16_e32 v127, v92, v67
	v_sub_f16_e32 v128, v75, v72
	;; [unrolled: 1-line block ×3, first 2 shown]
	v_fma_f16 v67, v71, s14, v6
	v_sub_f16_e32 v73, v15, v16
	v_sub_f16_e32 v72, v38, v39
	;; [unrolled: 1-line block ×3, first 2 shown]
	v_fma_f16 v6, v71, s7, v6
	v_fma_f16 v67, v73, s9, v67
	v_add_f16_e32 v72, v74, v72
	v_fma_f16 v6, v73, s6, v6
	v_fma_f16 v67, v72, s8, v67
	;; [unrolled: 1-line block ×3, first 2 shown]
	v_add_f16_e32 v72, v44, v38
	v_fma_f16 v74, v72, -0.5, v33
	v_fma_f16 v72, v73, s7, v74
	v_fma_f16 v73, v73, s14, v74
	;; [unrolled: 1-line block ×3, first 2 shown]
	v_sub_f16_e32 v75, v39, v38
	v_sub_f16_e32 v76, v40, v44
	v_fma_f16 v71, v71, s6, v73
	v_add_f16_e32 v73, v16, v15
	v_add_f16_e32 v75, v76, v75
	v_fma_f16 v73, v73, -0.5, v12
	v_sub_f16_e32 v76, v38, v44
	v_fma_f16 v72, v75, s8, v72
	v_fma_f16 v71, v75, s8, v71
	;; [unrolled: 1-line block ×3, first 2 shown]
	v_sub_f16_e32 v92, v39, v40
	v_sub_f16_e32 v75, v14, v15
	;; [unrolled: 1-line block ×3, first 2 shown]
	v_fma_f16 v73, v76, s14, v73
	v_fma_f16 v74, v92, s6, v74
	v_add_f16_e32 v75, v130, v75
	v_fma_f16 v73, v92, s9, v73
	v_fma_f16 v74, v75, s8, v74
	;; [unrolled: 1-line block ×3, first 2 shown]
	v_add_f16_e32 v75, v17, v14
	v_fma_f16 v130, v75, -0.5, v12
	v_fma_f16 v75, v92, s14, v130
	v_fma_f16 v92, v92, s7, v130
	;; [unrolled: 1-line block ×4, first 2 shown]
	v_mul_u32_u24_e32 v92, 10, v9
	v_lshl_add_u32 v92, v92, 1, 0
	v_pack_b32_f16 v100, v100, v101
	v_pack_b32_f16 v97, v97, v98
	ds_write2_b32 v92, v97, v100 offset1:1
	v_pack_b32_f16 v97, v106, v107
	v_pack_b32_f16 v98, v104, v105
	ds_write2_b32 v92, v98, v97 offset0:2 offset1:3
	v_pack_b32_f16 v97, v108, v109
	ds_write_b32 v92, v97 offset:16
	v_add_u32_e32 v97, 0x4b0, v92
	v_pack_b32_f16 v98, v112, v113
	v_pack_b32_f16 v100, v110, v111
	ds_write2_b32 v97, v100, v98 offset1:1
	v_add_u32_e32 v98, 0x4b8, v92
	v_pack_b32_f16 v100, v116, v117
	v_pack_b32_f16 v101, v114, v115
	ds_write2_b32 v98, v101, v100 offset1:1
	v_pack_b32_f16 v100, v118, v119
	v_sub_f16_e32 v131, v15, v14
	v_sub_f16_e32 v132, v16, v17
	ds_write_b32 v92, v100 offset:1216
	v_add_u32_e32 v100, 0x960, v92
	v_pack_b32_f16 v101, v124, v125
	v_pack_b32_f16 v104, v122, v123
	v_add_f16_e32 v131, v132, v131
	ds_write2_b32 v100, v104, v101 offset1:1
	v_add_u32_e32 v101, 0x968, v92
	v_pack_b32_f16 v104, v127, v120
	v_pack_b32_f16 v105, v126, v121
	v_fma_f16 v75, v131, s8, v75
	v_fma_f16 v76, v131, s8, v76
	ds_write2_b32 v101, v105, v104 offset1:1
	v_pack_b32_f16 v104, v128, v129
	v_cmp_gt_u32_e32 vcc, 36, v9
	ds_write_b32 v92, v104 offset:2416
	s_and_saveexec_b64 s[4:5], vcc
	s_cbranch_execz .LBB0_17
; %bb.16:
	v_sub_f16_e32 v104, v10, v11
	v_sub_f16_e32 v105, v23, v13
	;; [unrolled: 1-line block ×4, first 2 shown]
	v_add_f16_e32 v104, v105, v104
	v_add_f16_e32 v105, v13, v11
	;; [unrolled: 1-line block ×4, first 2 shown]
	v_fma_f16 v105, v105, -0.5, v34
	v_sub_f16_e32 v106, v18, v22
	v_sub_f16_e32 v108, v20, v21
	v_fma_f16 v112, v112, -0.5, v34
	v_fma_f16 v107, v106, s7, v105
	v_fma_f16 v113, v108, s14, v112
	;; [unrolled: 1-line block ×4, first 2 shown]
	v_add_f16_e32 v34, v10, v34
	v_add_f16_e32 v33, v38, v33
	v_fma_f16 v107, v108, s6, v107
	v_fma_f16 v113, v106, s6, v113
	;; [unrolled: 1-line block ×4, first 2 shown]
	v_add_f16_e32 v34, v11, v34
	v_add_f16_e32 v33, v39, v33
	v_fma_f16 v107, v104, s8, v107
	v_fma_f16 v113, v111, s8, v113
	v_mul_f16_e32 v114, 0xbb9c, v76
	v_fma_f16 v111, v111, s8, v112
	v_mul_f16_e32 v112, 0xbb9c, v75
	v_fma_f16 v104, v104, s8, v105
	v_mul_f16_e32 v105, 0xb8b4, v74
	v_add_f16_e32 v34, v13, v34
	v_add_f16_e32 v33, v40, v33
	v_mul_f16_e32 v109, 0xb8b4, v73
	v_fma_f16 v114, v71, s16, v114
	v_fma_f16 v112, v72, s8, v112
	;; [unrolled: 1-line block ×3, first 2 shown]
	v_add_f16_e32 v34, v23, v34
	v_add_f16_e32 v33, v44, v33
	v_fma_f16 v109, v6, s17, v109
	v_sub_f16_e32 v106, v104, v105
	v_sub_f16_e32 v38, v34, v33
	v_add_f16_e32 v40, v113, v114
	v_add_f16_e32 v44, v111, v112
	v_add_f16_e32 v104, v104, v105
	v_add_f16_e32 v33, v33, v34
	v_sub_f16_e32 v116, v111, v112
	v_add_f16_e32 v39, v107, v109
	v_add_u32_e32 v34, 0xe10, v92
	v_pack_b32_f16 v40, v44, v40
	v_pack_b32_f16 v33, v33, v104
	v_sub_f16_e32 v110, v107, v109
	v_sub_f16_e32 v115, v113, v114
	ds_write2_b32 v34, v33, v40 offset1:1
	v_add_u32_e32 v33, 0xe18, v92
	v_pack_b32_f16 v34, v106, v116
	v_pack_b32_f16 v38, v39, v38
	ds_write2_b32 v33, v38, v34 offset1:1
	v_pack_b32_f16 v33, v115, v110
	ds_write_b32 v92, v33 offset:3616
.LBB0_17:
	s_or_b64 exec, exec, s[4:5]
	v_add_f16_e32 v34, v66, v68
	v_fma_f16 v34, v34, -0.5, v70
	v_sub_f16_e32 v32, v36, v32
	v_fma_f16 v36, v32, s7, v34
	v_sub_f16_e32 v35, v35, v37
	v_sub_f16_e32 v37, v69, v68
	;; [unrolled: 1-line block ×3, first 2 shown]
	v_fma_f16 v34, v32, s14, v34
	v_fma_f16 v36, v35, s6, v36
	v_add_f16_e32 v37, v38, v37
	v_fma_f16 v34, v35, s9, v34
	v_fma_f16 v36, v37, s8, v36
	;; [unrolled: 1-line block ×3, first 2 shown]
	v_add_f16_e32 v37, v65, v69
	v_fma_f16 v37, v37, -0.5, v70
	v_fma_f16 v38, v35, s14, v37
	v_fma_f16 v35, v35, s7, v37
	v_add_f16_e32 v33, v69, v70
	v_fma_f16 v38, v32, s6, v38
	v_fma_f16 v32, v32, s9, v35
	v_add_f16_e32 v35, v63, v64
	v_mul_f16_e32 v5, 0x38b4, v5
	v_add_f16_e32 v33, v68, v33
	v_sub_f16_e32 v39, v68, v69
	v_sub_f16_e32 v40, v66, v65
	v_add_f16_e32 v35, v62, v35
	v_fma_f16 v5, v83, s15, v5
	v_add_f16_e32 v33, v66, v33
	v_add_f16_e32 v39, v40, v39
	;; [unrolled: 1-line block ×4, first 2 shown]
	v_sub_f16_e32 v66, v36, v5
	v_add_f16_e32 v5, v56, v57
	v_fma_f16 v38, v39, s8, v38
	v_fma_f16 v32, v39, s8, v32
	v_mul_f16_e32 v39, 0x34f2, v85
	v_fma_f16 v5, v5, -0.5, v59
	v_sub_f16_e32 v28, v31, v28
	v_fma_f16 v39, v86, s7, -v39
	v_fma_f16 v31, v28, s7, v5
	v_sub_f16_e32 v29, v30, v29
	v_add_f16_e32 v63, v32, v39
	v_sub_f16_e32 v69, v32, v39
	v_fma_f16 v30, v29, s6, v31
	v_sub_f16_e32 v31, v58, v57
	v_sub_f16_e32 v32, v55, v56
	v_fma_f16 v5, v28, s14, v5
	v_add_f16_e32 v33, v65, v33
	v_add_f16_e32 v35, v60, v35
	;; [unrolled: 1-line block ×3, first 2 shown]
	v_fma_f16 v5, v29, s9, v5
	v_add_f16_e32 v60, v35, v33
	v_mul_f16_e32 v40, 0x3a79, v82
	v_sub_f16_e32 v65, v33, v35
	v_fma_f16 v30, v31, s8, v30
	v_fma_f16 v5, v31, s8, v5
	v_add_f16_e32 v31, v55, v58
	v_mul_f16_e32 v35, 0x3a79, v77
	v_fma_f16 v0, v0, s6, -v40
	v_fma_f16 v31, v31, -0.5, v59
	v_fma_f16 v35, v81, s6, -v35
	v_add_f16_e32 v64, v34, v0
	v_sub_f16_e32 v70, v34, v0
	v_fma_f16 v32, v29, s14, v31
	v_sub_f16_e32 v33, v57, v58
	v_sub_f16_e32 v34, v56, v55
	v_fma_f16 v29, v29, s7, v31
	v_add_f16_e32 v77, v5, v35
	v_sub_f16_e32 v85, v5, v35
	v_add_f16_e32 v5, v46, v47
	v_fma_f16 v32, v28, s6, v32
	v_add_f16_e32 v33, v34, v33
	v_fma_f16 v28, v28, s9, v29
	v_mul_f16_e32 v34, 0x34f2, v90
	v_fma_f16 v5, v5, -0.5, v49
	v_sub_f16_e32 v26, v27, v26
	v_mul_f16_e32 v37, 0x3b9c, v87
	v_fma_f16 v28, v33, s8, v28
	v_fma_f16 v34, v79, s7, -v34
	v_fma_f16 v27, v26, s7, v5
	v_sub_f16_e32 v24, v24, v25
	v_fma_f16 v37, v84, s8, v37
	v_add_f16_e32 v79, v28, v34
	v_sub_f16_e32 v84, v28, v34
	v_fma_f16 v25, v24, s6, v27
	v_sub_f16_e32 v27, v48, v47
	v_sub_f16_e32 v28, v45, v46
	v_fma_f16 v5, v26, s14, v5
	v_add_f16_e32 v0, v58, v59
	v_add_f16_e32 v29, v53, v54
	;; [unrolled: 1-line block ×3, first 2 shown]
	v_fma_f16 v5, v24, s9, v5
	v_add_f16_e32 v0, v57, v0
	v_add_f16_e32 v29, v52, v29
	v_fma_f16 v25, v27, s8, v25
	v_fma_f16 v5, v27, s8, v5
	v_add_f16_e32 v27, v45, v48
	v_add_f16_e32 v0, v56, v0
	;; [unrolled: 1-line block ×3, first 2 shown]
	v_fma_f16 v27, v27, -0.5, v49
	v_add_f16_e32 v0, v55, v0
	v_add_f16_e32 v29, v50, v29
	v_mul_f16_e32 v31, 0x38b4, v88
	v_fma_f16 v28, v24, s14, v27
	v_fma_f16 v24, v24, s7, v27
	v_add_f16_e32 v59, v29, v0
	v_fma_f16 v31, v78, s15, v31
	v_sub_f16_e32 v81, v0, v29
	v_add_f16_e32 v0, v48, v49
	v_fma_f16 v28, v26, s6, v28
	v_fma_f16 v24, v26, s9, v24
	v_add_f16_e32 v26, v42, v43
	v_add_f16_e32 v78, v30, v31
	v_sub_f16_e32 v82, v30, v31
	v_add_f16_e32 v0, v47, v0
	v_sub_f16_e32 v29, v47, v48
	v_sub_f16_e32 v30, v46, v45
	v_add_f16_e32 v26, v41, v26
	v_add_f16_e32 v0, v46, v0
	;; [unrolled: 1-line block ×4, first 2 shown]
	v_fma_f16 v32, v33, s8, v32
	v_mul_f16_e32 v33, 0x3b9c, v89
	v_add_f16_e32 v0, v45, v0
	v_fma_f16 v28, v29, s8, v28
	v_fma_f16 v24, v29, s8, v24
	v_add_f16_e32 v7, v7, v8
	v_mul_f16_e32 v8, 0x38b4, v93
	v_mul_f16_e32 v26, 0x3b9c, v95
	;; [unrolled: 1-line block ×4, first 2 shown]
	v_fma_f16 v33, v80, s8, v33
	v_add_f16_e32 v86, v7, v0
	v_fma_f16 v8, v99, s15, v8
	v_fma_f16 v26, v102, s8, v26
	v_fma_f16 v27, v94, s7, -v27
	v_fma_f16 v29, v91, s6, -v29
	v_sub_f16_e32 v7, v0, v7
	v_lshl_add_u32 v0, v9, 1, 0
	v_add_f16_e32 v62, v38, v37
	v_sub_f16_e32 v68, v38, v37
	v_add_f16_e32 v80, v32, v33
	v_sub_f16_e32 v83, v32, v33
	v_add_f16_e32 v87, v25, v8
	v_add_f16_e32 v88, v28, v26
	v_add_f16_e32 v89, v24, v27
	v_add_f16_e32 v90, v5, v29
	v_sub_f16_e32 v91, v25, v8
	v_sub_f16_e32 v93, v28, v26
	;; [unrolled: 1-line block ×4, first 2 shown]
	s_waitcnt lgkmcnt(0)
	; wave barrier
	s_waitcnt lgkmcnt(0)
	ds_read_u16 v50, v0 offset:840
	ds_read_u16 v43, v0 offset:3720
	;; [unrolled: 1-line block ×5, first 2 shown]
	ds_read_u16 v28, v0
	ds_read_u16 v27, v0 offset:120
	ds_read_u16 v26, v0 offset:240
	;; [unrolled: 1-line block ×30, first 2 shown]
	v_pack_b32_f16 v62, v62, v63
	v_pack_b32_f16 v60, v60, v61
	s_waitcnt lgkmcnt(0)
	; wave barrier
	s_waitcnt lgkmcnt(0)
	ds_write2_b32 v92, v60, v62 offset1:1
	v_pack_b32_f16 v60, v66, v68
	v_pack_b32_f16 v61, v64, v65
	ds_write2_b32 v92, v61, v60 offset0:2 offset1:3
	v_pack_b32_f16 v60, v69, v70
	ds_write_b32 v92, v60 offset:16
	v_pack_b32_f16 v60, v80, v79
	v_pack_b32_f16 v59, v59, v78
	ds_write2_b32 v97, v59, v60 offset1:1
	v_pack_b32_f16 v59, v82, v83
	v_pack_b32_f16 v60, v77, v81
	ds_write2_b32 v98, v60, v59 offset1:1
	v_pack_b32_f16 v59, v84, v85
	ds_write_b32 v92, v59 offset:1216
	v_pack_b32_f16 v59, v88, v89
	v_pack_b32_f16 v60, v86, v87
	ds_write2_b32 v100, v60, v59 offset1:1
	v_pack_b32_f16 v59, v91, v93
	v_pack_b32_f16 v7, v90, v7
	v_add_u32_e32 v5, 0xb4, v9
	ds_write2_b32 v101, v7, v59 offset1:1
	v_pack_b32_f16 v7, v94, v95
	ds_write_b32 v92, v7 offset:2416
	s_and_saveexec_b64 s[4:5], vcc
	s_cbranch_execz .LBB0_19
; %bb.18:
	v_add_f16_e32 v59, v21, v20
	v_fma_f16 v59, v59, -0.5, v19
	v_sub_f16_e32 v10, v10, v23
	s_movk_i32 s6, 0x3b9c
	v_fma_f16 v23, v10, s6, v59
	v_sub_f16_e32 v11, v11, v13
	s_movk_i32 s7, 0x38b4
	s_mov_b32 s9, 0xbb9c
	v_fma_f16 v13, v11, s7, v23
	v_sub_f16_e32 v23, v18, v20
	v_sub_f16_e32 v60, v22, v21
	v_fma_f16 v59, v10, s9, v59
	s_mov_b32 s14, 0xb8b4
	v_add_f16_e32 v23, v60, v23
	v_fma_f16 v59, v11, s14, v59
	v_fma_f16 v13, v23, s8, v13
	;; [unrolled: 1-line block ×3, first 2 shown]
	v_add_f16_e32 v59, v22, v18
	v_add_f16_e32 v7, v18, v19
	v_fma_f16 v19, v59, -0.5, v19
	v_fma_f16 v59, v11, s9, v19
	v_fma_f16 v11, v11, s6, v19
	v_add_f16_e32 v7, v20, v7
	v_fma_f16 v59, v10, s7, v59
	v_sub_f16_e32 v18, v20, v18
	v_sub_f16_e32 v20, v21, v22
	v_fma_f16 v10, v10, s14, v11
	v_add_f16_e32 v11, v14, v12
	v_add_f16_e32 v18, v20, v18
	;; [unrolled: 1-line block ×4, first 2 shown]
	v_fma_f16 v20, v18, s8, v59
	v_fma_f16 v10, v18, s8, v10
	v_add_f16_e32 v11, v16, v11
	v_mul_f16_e32 v14, 0x38b4, v67
	s_movk_i32 s9, 0x3a79
	v_mul_f16_e32 v16, 0x3b9c, v72
	v_mul_f16_e32 v18, 0x34f2, v76
	;; [unrolled: 1-line block ×3, first 2 shown]
	v_add_f16_e32 v7, v22, v7
	v_add_f16_e32 v11, v17, v11
	v_fma_f16 v14, v74, s9, v14
	v_fma_f16 v16, v75, s8, v16
	v_fma_f16 v18, v71, s6, -v18
	v_fma_f16 v6, v6, s7, -v21
	v_add_f16_e32 v12, v11, v7
	v_add_f16_e32 v15, v13, v14
	;; [unrolled: 1-line block ×5, first 2 shown]
	v_sub_f16_e32 v7, v7, v11
	v_sub_f16_e32 v11, v13, v14
	;; [unrolled: 1-line block ×5, first 2 shown]
	v_mul_u32_u24_e32 v14, 10, v5
	v_lshl_add_u32 v14, v14, 1, 0
	v_pack_b32_f16 v16, v17, v19
	v_pack_b32_f16 v12, v12, v15
	;; [unrolled: 1-line block ×5, first 2 shown]
	ds_write2_b32 v14, v12, v16 offset1:1
	ds_write2_b32 v14, v7, v11 offset0:2 offset1:3
	ds_write_b32 v14, v6 offset:16
.LBB0_19:
	s_or_b64 exec, exec, s[4:5]
	s_movk_i32 s4, 0xcd
	v_mul_lo_u16_sdwa v6, v9, s4 dst_sel:DWORD dst_unused:UNUSED_PAD src0_sel:BYTE_0 src1_sel:DWORD
	v_lshrrev_b16_e32 v11, 11, v6
	v_mul_lo_u16_e32 v6, 10, v11
	v_sub_u16_e32 v12, v9, v6
	v_mov_b32_e32 v67, 5
	v_mul_u32_u24_sdwa v6, v12, v67 dst_sel:DWORD dst_unused:UNUSED_PAD src0_sel:BYTE_0 src1_sel:DWORD
	v_lshlrev_b32_e32 v10, 2, v6
	s_waitcnt lgkmcnt(0)
	; wave barrier
	s_waitcnt lgkmcnt(0)
	global_load_dwordx4 v[20:23], v10, s[12:13]
	ds_read_u16 v75, v0 offset:840
	ds_read_u16 v76, v0 offset:3720
	v_add_u16_e32 v14, 60, v9
	global_load_dword v77, v10, s[12:13] offset:16
	v_mul_lo_u16_sdwa v13, v14, s4 dst_sel:DWORD dst_unused:UNUSED_PAD src0_sel:BYTE_0 src1_sel:DWORD
	v_lshrrev_b16_e32 v13, 11, v13
	v_mul_lo_u16_e32 v15, 10, v13
	v_sub_u16_e32 v14, v14, v15
	v_mul_u32_u24_sdwa v10, v14, v67 dst_sel:DWORD dst_unused:UNUSED_PAD src0_sel:BYTE_0 src1_sel:DWORD
	v_lshlrev_b32_e32 v16, 2, v10
	global_load_dwordx4 v[59:62], v16, s[12:13]
	v_add_u16_e32 v10, 0x78, v9
	v_mul_lo_u16_sdwa v15, v10, s4 dst_sel:DWORD dst_unused:UNUSED_PAD src0_sel:BYTE_0 src1_sel:DWORD
	v_lshrrev_b16_e32 v15, 11, v15
	ds_read_u16 v78, v0 offset:1560
	ds_read_u16 v79, v0 offset:1680
	;; [unrolled: 1-line block ×3, first 2 shown]
	ds_read_u16 v81, v0
	ds_read_u16 v82, v0 offset:120
	ds_read_u16 v83, v0 offset:240
	;; [unrolled: 1-line block ×17, first 2 shown]
	global_load_dword v96, v16, s[12:13] offset:16
	v_mul_lo_u16_e32 v16, 10, v15
	v_sub_u16_e32 v16, v10, v16
	v_mul_u32_u24_sdwa v17, v16, v67 dst_sel:DWORD dst_unused:UNUSED_PAD src0_sel:BYTE_0 src1_sel:DWORD
	v_lshlrev_b32_e32 v73, 2, v17
	v_mul_lo_u16_sdwa v17, v5, s4 dst_sel:DWORD dst_unused:UNUSED_PAD src0_sel:BYTE_0 src1_sel:DWORD
	v_lshrrev_b16_e32 v17, 11, v17
	v_mul_lo_u16_e32 v18, 10, v17
	v_sub_u16_e32 v18, v5, v18
	v_add_u32_e32 v6, 0xf0, v9
	global_load_dwordx4 v[63:66], v73, s[12:13]
	ds_read_u16 v97, v0 offset:2280
	ds_read_u16 v98, v0 offset:2400
	;; [unrolled: 1-line block ×9, first 2 shown]
	v_mul_u32_u24_sdwa v67, v18, v67 dst_sel:DWORD dst_unused:UNUSED_PAD src0_sel:BYTE_0 src1_sel:DWORD
	s_mov_b32 s4, 0xcccd
	v_lshlrev_b32_e32 v74, 2, v67
	global_load_dword v106, v73, s[12:13] offset:16
	global_load_dwordx4 v[67:70], v74, s[12:13]
	v_mul_u32_u24_sdwa v73, v6, s4 dst_sel:DWORD dst_unused:UNUSED_PAD src0_sel:WORD_0 src1_sel:DWORD
	ds_read_u16 v107, v0 offset:3840
	ds_read_u16 v108, v0 offset:3960
	;; [unrolled: 1-line block ×4, first 2 shown]
	v_lshrrev_b32_e32 v111, 19, v73
	global_load_dword v112, v74, s[12:13] offset:16
	v_add_u32_e32 v7, 0x12c, v9
	s_movk_i32 s5, 0x3aee
	v_mul_u32_u24_e32 v11, 0x78, v11
	s_movk_i32 s6, 0x89
	s_waitcnt vmcnt(7) lgkmcnt(14)
	v_mul_f16_sdwa v113, v72, v21 dst_sel:DWORD dst_unused:UNUSED_PAD src0_sel:DWORD src1_sel:WORD_1
	v_mul_f16_sdwa v114, v57, v21 dst_sel:DWORD dst_unused:UNUSED_PAD src0_sel:DWORD src1_sel:WORD_1
	;; [unrolled: 1-line block ×4, first 2 shown]
	s_waitcnt lgkmcnt(7)
	v_mul_f16_sdwa v115, v102, v22 dst_sel:DWORD dst_unused:UNUSED_PAD src0_sel:DWORD src1_sel:WORD_1
	v_fma_f16 v57, v57, v21, v113
	v_fma_f16 v113, v72, v21, -v114
	v_mul_f16_sdwa v21, v58, v22 dst_sel:DWORD dst_unused:UNUSED_PAD src0_sel:DWORD src1_sel:WORD_1
	v_fma_f16 v56, v56, v20, v73
	v_fma_f16 v116, v71, v20, -v74
	v_fma_f16 v114, v58, v22, v115
	v_mul_lo_u16_e32 v20, 10, v111
	v_fma_f16 v58, v102, v22, -v21
	v_mul_f16_sdwa v21, v90, v23 dst_sel:DWORD dst_unused:UNUSED_PAD src0_sel:DWORD src1_sel:WORD_1
	v_sub_u16_e32 v115, v6, v20
	v_fma_f16 v102, v54, v23, v21
	v_mul_f16_sdwa v21, v54, v23 dst_sel:DWORD dst_unused:UNUSED_PAD src0_sel:DWORD src1_sel:WORD_1
	v_mul_u32_u24_e32 v20, 5, v115
	v_fma_f16 v54, v90, v23, -v21
	s_waitcnt vmcnt(6) lgkmcnt(5)
	v_mul_f16_sdwa v21, v104, v77 dst_sel:DWORD dst_unused:UNUSED_PAD src0_sel:DWORD src1_sel:WORD_1
	v_lshlrev_b32_e32 v20, 2, v20
	v_fma_f16 v90, v55, v77, v21
	v_mul_f16_sdwa v21, v55, v77 dst_sel:DWORD dst_unused:UNUSED_PAD src0_sel:DWORD src1_sel:WORD_1
	global_load_dwordx4 v[71:74], v20, s[12:13]
	v_fma_f16 v55, v104, v77, -v21
	global_load_dword v104, v20, s[12:13] offset:16
	v_mul_u32_u24_sdwa v20, v7, s4 dst_sel:DWORD dst_unused:UNUSED_PAD src0_sel:WORD_0 src1_sel:DWORD
	v_lshrrev_b32_e32 v117, 19, v20
	v_mul_lo_u16_e32 v20, 10, v117
	v_sub_u16_e32 v118, v7, v20
	v_mul_u32_u24_e32 v20, 5, v118
	s_waitcnt vmcnt(7)
	v_mul_f16_sdwa v21, v75, v59 dst_sel:DWORD dst_unused:UNUSED_PAD src0_sel:DWORD src1_sel:WORD_1
	v_lshlrev_b32_e32 v119, 2, v20
	v_fma_f16 v77, v50, v59, v21
	global_load_dwordx4 v[20:23], v119, s[12:13]
	v_mul_f16_sdwa v50, v50, v59 dst_sel:DWORD dst_unused:UNUSED_PAD src0_sel:DWORD src1_sel:WORD_1
	v_fma_f16 v50, v75, v59, -v50
	global_load_dword v75, v119, s[12:13] offset:16
	v_mul_f16_sdwa v59, v78, v60 dst_sel:DWORD dst_unused:UNUSED_PAD src0_sel:DWORD src1_sel:WORD_1
	v_fma_f16 v59, v51, v60, v59
	v_mul_f16_sdwa v51, v51, v60 dst_sel:DWORD dst_unused:UNUSED_PAD src0_sel:DWORD src1_sel:WORD_1
	v_fma_f16 v51, v78, v60, -v51
	s_waitcnt vmcnt(5)
	v_mul_f16_sdwa v78, v87, v67 dst_sel:DWORD dst_unused:UNUSED_PAD src0_sel:DWORD src1_sel:WORD_1
	v_fma_f16 v78, v42, v67, v78
	v_mul_f16_sdwa v42, v42, v67 dst_sel:DWORD dst_unused:UNUSED_PAD src0_sel:DWORD src1_sel:WORD_1
	v_fma_f16 v42, v87, v67, -v42
	v_mul_f16_sdwa v67, v80, v68 dst_sel:DWORD dst_unused:UNUSED_PAD src0_sel:DWORD src1_sel:WORD_1
	v_fma_f16 v67, v37, v68, v67
	v_mul_f16_sdwa v37, v37, v68 dst_sel:DWORD dst_unused:UNUSED_PAD src0_sel:DWORD src1_sel:WORD_1
	v_fma_f16 v37, v80, v68, -v37
	;; [unrolled: 4-line block ×6, first 2 shown]
	v_mul_f16_sdwa v63, v79, v64 dst_sel:DWORD dst_unused:UNUSED_PAD src0_sel:DWORD src1_sel:WORD_1
	v_add_f16_e32 v86, v57, v102
	v_fma_f16 v63, v41, v64, v63
	v_mul_f16_sdwa v41, v41, v64 dst_sel:DWORD dst_unused:UNUSED_PAD src0_sel:DWORD src1_sel:WORD_1
	s_mov_b32 s4, 0xbaee
	v_fma_f16 v41, v79, v64, -v41
	v_mul_f16_sdwa v68, v99, v69 dst_sel:DWORD dst_unused:UNUSED_PAD src0_sel:DWORD src1_sel:WORD_1
	v_mul_f16_sdwa v64, v98, v65 dst_sel:DWORD dst_unused:UNUSED_PAD src0_sel:DWORD src1_sel:WORD_1
	v_fma_f16 v68, v44, v69, v68
	v_mul_f16_sdwa v44, v44, v69 dst_sel:DWORD dst_unused:UNUSED_PAD src0_sel:DWORD src1_sel:WORD_1
	v_fma_f16 v64, v48, v65, v64
	v_mul_f16_sdwa v48, v48, v65 dst_sel:DWORD dst_unused:UNUSED_PAD src0_sel:DWORD src1_sel:WORD_1
	v_fma_f16 v44, v99, v69, -v44
	v_mul_f16_sdwa v69, v93, v70 dst_sel:DWORD dst_unused:UNUSED_PAD src0_sel:DWORD src1_sel:WORD_1
	v_fma_f16 v48, v98, v65, -v48
	v_mul_f16_sdwa v65, v92, v66 dst_sel:DWORD dst_unused:UNUSED_PAD src0_sel:DWORD src1_sel:WORD_1
	v_fma_f16 v69, v40, v70, v69
	v_mul_f16_sdwa v40, v40, v70 dst_sel:DWORD dst_unused:UNUSED_PAD src0_sel:DWORD src1_sel:WORD_1
	v_fma_f16 v65, v46, v66, v65
	v_mul_f16_sdwa v46, v46, v66 dst_sel:DWORD dst_unused:UNUSED_PAD src0_sel:DWORD src1_sel:WORD_1
	v_fma_f16 v40, v93, v70, -v40
	v_fma_f16 v46, v92, v66, -v46
	s_waitcnt lgkmcnt(3)
	v_mul_f16_sdwa v66, v107, v106 dst_sel:DWORD dst_unused:UNUSED_PAD src0_sel:DWORD src1_sel:WORD_1
	v_fma_f16 v66, v49, v106, v66
	v_mul_f16_sdwa v49, v49, v106 dst_sel:DWORD dst_unused:UNUSED_PAD src0_sel:DWORD src1_sel:WORD_1
	v_fma_f16 v49, v107, v106, -v49
	s_waitcnt vmcnt(4) lgkmcnt(2)
	v_mul_f16_sdwa v70, v108, v112 dst_sel:DWORD dst_unused:UNUSED_PAD src0_sel:DWORD src1_sel:WORD_1
	v_fma_f16 v70, v45, v112, v70
	v_mul_f16_sdwa v45, v45, v112 dst_sel:DWORD dst_unused:UNUSED_PAD src0_sel:DWORD src1_sel:WORD_1
	v_fma_f16 v45, v108, v112, -v45
	s_waitcnt lgkmcnt(0)
	; wave barrier
	s_waitcnt vmcnt(3) lgkmcnt(0)
	v_mul_f16_sdwa v79, v88, v71 dst_sel:DWORD dst_unused:UNUSED_PAD src0_sel:DWORD src1_sel:WORD_1
	v_fma_f16 v79, v36, v71, v79
	v_mul_f16_sdwa v36, v36, v71 dst_sel:DWORD dst_unused:UNUSED_PAD src0_sel:DWORD src1_sel:WORD_1
	v_fma_f16 v36, v88, v71, -v36
	v_mul_f16_sdwa v71, v89, v72 dst_sel:DWORD dst_unused:UNUSED_PAD src0_sel:DWORD src1_sel:WORD_1
	v_add_f16_e32 v88, v114, v90
	v_fma_f16 v71, v35, v72, v71
	v_mul_f16_sdwa v35, v35, v72 dst_sel:DWORD dst_unused:UNUSED_PAD src0_sel:DWORD src1_sel:WORD_1
	v_fma_f16 v35, v89, v72, -v35
	v_mul_f16_sdwa v72, v100, v73 dst_sel:DWORD dst_unused:UNUSED_PAD src0_sel:DWORD src1_sel:WORD_1
	v_fma_f16 v72, v38, v73, v72
	s_waitcnt vmcnt(1)
	v_mul_f16_sdwa v80, v95, v20 dst_sel:DWORD dst_unused:UNUSED_PAD src0_sel:DWORD src1_sel:WORD_1
	v_fma_f16 v80, v32, v20, v80
	v_mul_f16_sdwa v32, v32, v20 dst_sel:DWORD dst_unused:UNUSED_PAD src0_sel:DWORD src1_sel:WORD_1
	v_fma_f16 v20, v95, v20, -v32
	v_mul_f16_sdwa v32, v103, v21 dst_sel:DWORD dst_unused:UNUSED_PAD src0_sel:DWORD src1_sel:WORD_1
	v_fma_f16 v32, v34, v21, v32
	v_mul_f16_sdwa v34, v34, v21 dst_sel:DWORD dst_unused:UNUSED_PAD src0_sel:DWORD src1_sel:WORD_1
	v_fma_f16 v21, v103, v21, -v34
	;; [unrolled: 4-line block ×4, first 2 shown]
	s_waitcnt vmcnt(0)
	v_mul_f16_sdwa v30, v110, v75 dst_sel:DWORD dst_unused:UNUSED_PAD src0_sel:DWORD src1_sel:WORD_1
	v_fma_f16 v30, v31, v75, v30
	v_mul_f16_sdwa v31, v31, v75 dst_sel:DWORD dst_unused:UNUSED_PAD src0_sel:DWORD src1_sel:WORD_1
	v_fma_f16 v31, v110, v75, -v31
	v_add_f16_e32 v75, v28, v57
	v_fma_f16 v28, v86, -0.5, v28
	v_sub_f16_e32 v86, v113, v54
	v_fma_f16 v87, v86, s4, v28
	v_fma_f16 v28, v86, s5, v28
	v_add_f16_e32 v86, v81, v113
	v_add_f16_e32 v86, v86, v54
	;; [unrolled: 1-line block ×3, first 2 shown]
	v_fma_f16 v54, v54, -0.5, v81
	v_sub_f16_e32 v57, v57, v102
	v_fma_f16 v81, v57, s5, v54
	v_fma_f16 v54, v57, s4, v54
	v_add_f16_e32 v57, v56, v114
	v_fma_f16 v56, v88, -0.5, v56
	v_sub_f16_e32 v88, v58, v55
	v_fma_f16 v89, v88, s4, v56
	v_fma_f16 v56, v88, s5, v56
	v_add_f16_e32 v88, v116, v58
	v_add_f16_e32 v88, v88, v55
	;; [unrolled: 1-line block ×3, first 2 shown]
	v_fma_f16 v55, v55, -0.5, v116
	v_sub_f16_e32 v58, v114, v90
	v_add_f16_e32 v57, v57, v90
	v_fma_f16 v90, v58, s5, v55
	v_fma_f16 v55, v58, s4, v55
	v_mul_f16_e32 v91, 0xbaee, v90
	v_add_f16_e32 v75, v75, v102
	v_fma_f16 v91, v89, 0.5, v91
	v_mul_f16_e32 v93, 0xbaee, v55
	v_mul_f16_e32 v55, -0.5, v55
	v_add_f16_e32 v58, v75, v57
	v_add_f16_e32 v92, v87, v91
	v_fma_f16 v55, v56, s5, v55
	v_sub_f16_e32 v57, v75, v57
	v_sub_f16_e32 v75, v87, v91
	v_add_f16_e32 v87, v59, v61
	v_fma_f16 v93, v56, -0.5, v93
	v_add_f16_e32 v56, v54, v55
	v_sub_f16_e32 v54, v54, v55
	v_add_f16_e32 v55, v27, v59
	v_fma_f16 v27, v87, -0.5, v27
	v_sub_f16_e32 v87, v51, v52
	v_add_f16_e32 v95, v86, v88
	v_sub_f16_e32 v86, v86, v88
	v_fma_f16 v88, v87, s4, v27
	v_fma_f16 v27, v87, s5, v27
	v_add_f16_e32 v87, v82, v51
	v_add_f16_e32 v51, v51, v52
	;; [unrolled: 1-line block ×4, first 2 shown]
	v_fma_f16 v51, v51, -0.5, v82
	v_sub_f16_e32 v52, v59, v61
	v_add_f16_e32 v61, v60, v62
	v_fma_f16 v59, v52, s5, v51
	v_fma_f16 v51, v52, s4, v51
	v_add_f16_e32 v52, v77, v60
	v_fma_f16 v61, v61, -0.5, v77
	v_sub_f16_e32 v77, v53, v43
	v_fma_f16 v82, v77, s4, v61
	v_fma_f16 v61, v77, s5, v61
	v_add_f16_e32 v77, v50, v53
	v_add_f16_e32 v77, v77, v43
	;; [unrolled: 1-line block ×3, first 2 shown]
	v_fma_f16 v43, v43, -0.5, v50
	v_sub_f16_e32 v50, v60, v62
	v_mul_f16_e32 v90, 0.5, v90
	v_fma_f16 v53, v50, s5, v43
	v_fma_f16 v89, v89, s5, v90
	;; [unrolled: 1-line block ×3, first 2 shown]
	v_mul_f16_e32 v60, 0xbaee, v53
	v_mul_f16_e32 v53, 0.5, v53
	v_mul_f16_sdwa v38, v38, v73 dst_sel:DWORD dst_unused:UNUSED_PAD src0_sel:DWORD src1_sel:WORD_1
	v_add_f16_e32 v90, v81, v89
	v_sub_f16_e32 v81, v81, v89
	v_mul_f16_e32 v89, 0xbaee, v43
	v_fma_f16 v53, v82, s5, v53
	v_mul_f16_e32 v43, -0.5, v43
	v_fma_f16 v38, v100, v73, -v38
	v_mul_f16_sdwa v73, v94, v74 dst_sel:DWORD dst_unused:UNUSED_PAD src0_sel:DWORD src1_sel:WORD_1
	v_fma_f16 v60, v82, 0.5, v60
	v_add_f16_e32 v82, v59, v53
	v_fma_f16 v43, v61, s5, v43
	v_sub_f16_e32 v53, v59, v53
	v_add_f16_e32 v59, v63, v65
	v_fma_f16 v73, v33, v74, v73
	v_mul_f16_sdwa v33, v33, v74 dst_sel:DWORD dst_unused:UNUSED_PAD src0_sel:DWORD src1_sel:WORD_1
	v_add_f16_e32 v52, v52, v62
	v_fma_f16 v89, v61, -0.5, v89
	v_add_f16_e32 v61, v51, v43
	v_sub_f16_e32 v43, v51, v43
	v_add_f16_e32 v51, v26, v63
	v_fma_f16 v26, v59, -0.5, v26
	v_sub_f16_e32 v59, v41, v46
	v_fma_f16 v33, v94, v74, -v33
	v_add_f16_e32 v94, v28, v93
	v_sub_f16_e32 v28, v28, v93
	v_add_f16_e32 v50, v55, v52
	v_add_f16_e32 v62, v88, v60
	;; [unrolled: 1-line block ×3, first 2 shown]
	v_sub_f16_e32 v52, v55, v52
	v_sub_f16_e32 v55, v88, v60
	;; [unrolled: 1-line block ×3, first 2 shown]
	v_fma_f16 v77, v59, s4, v26
	v_fma_f16 v26, v59, s5, v26
	v_add_f16_e32 v59, v83, v41
	v_add_f16_e32 v41, v41, v46
	;; [unrolled: 1-line block ×4, first 2 shown]
	v_fma_f16 v41, v41, -0.5, v83
	v_sub_f16_e32 v46, v63, v65
	v_add_f16_e32 v65, v64, v66
	v_fma_f16 v63, v46, s5, v41
	v_fma_f16 v41, v46, s4, v41
	v_add_f16_e32 v46, v76, v64
	v_fma_f16 v65, v65, -0.5, v76
	v_sub_f16_e32 v76, v48, v49
	v_fma_f16 v83, v76, s4, v65
	v_fma_f16 v65, v76, s5, v65
	v_add_f16_e32 v76, v47, v48
	v_add_f16_e32 v48, v48, v49
	v_fma_f16 v47, v48, -0.5, v47
	v_sub_f16_e32 v48, v64, v66
	v_add_f16_e32 v76, v76, v49
	v_fma_f16 v49, v48, s5, v47
	v_fma_f16 v47, v48, s4, v47
	v_mul_f16_e32 v64, 0xbaee, v49
	v_mul_f16_e32 v49, 0.5, v49
	v_mul_f16_e32 v87, 0xbaee, v47
	v_fma_f16 v49, v83, s5, v49
	v_mul_f16_e32 v47, -0.5, v47
	v_fma_f16 v64, v83, 0.5, v64
	v_add_f16_e32 v83, v63, v49
	v_fma_f16 v47, v65, s5, v47
	v_sub_f16_e32 v49, v63, v49
	v_add_f16_e32 v63, v67, v69
	v_add_f16_e32 v46, v46, v66
	v_fma_f16 v87, v65, -0.5, v87
	v_add_f16_e32 v65, v41, v47
	v_sub_f16_e32 v41, v41, v47
	v_add_f16_e32 v47, v25, v67
	v_fma_f16 v25, v63, -0.5, v25
	v_sub_f16_e32 v63, v37, v40
	v_add_f16_e32 v48, v51, v46
	v_add_f16_e32 v66, v77, v64
	v_sub_f16_e32 v46, v51, v46
	v_sub_f16_e32 v51, v77, v64
	v_fma_f16 v64, v63, s4, v25
	v_fma_f16 v25, v63, s5, v25
	v_add_f16_e32 v63, v84, v37
	v_add_f16_e32 v47, v47, v69
	;; [unrolled: 1-line block ×4, first 2 shown]
	v_sub_f16_e32 v40, v67, v69
	v_add_f16_e32 v69, v68, v70
	v_add_f16_e32 v91, v27, v89
	v_sub_f16_e32 v27, v27, v89
	v_add_f16_e32 v89, v59, v76
	v_sub_f16_e32 v59, v59, v76
	v_fma_f16 v69, v69, -0.5, v78
	v_sub_f16_e32 v76, v44, v45
	v_fma_f16 v77, v76, s4, v69
	v_fma_f16 v69, v76, s5, v69
	v_add_f16_e32 v76, v42, v44
	v_add_f16_e32 v44, v44, v45
	v_fma_f16 v42, v44, -0.5, v42
	v_sub_f16_e32 v44, v68, v70
	v_fma_f16 v37, v37, -0.5, v84
	v_add_f16_e32 v76, v76, v45
	v_fma_f16 v45, v44, s5, v42
	v_fma_f16 v67, v40, s5, v37
	;; [unrolled: 1-line block ×3, first 2 shown]
	v_add_f16_e32 v40, v78, v68
	v_fma_f16 v42, v44, s4, v42
	v_mul_f16_e32 v68, 0xbaee, v45
	v_add_f16_e32 v40, v40, v70
	v_fma_f16 v68, v77, 0.5, v68
	v_mul_f16_e32 v78, 0xbaee, v42
	v_mul_f16_e32 v42, -0.5, v42
	v_add_f16_e32 v44, v47, v40
	v_add_f16_e32 v70, v64, v68
	v_mul_f16_e32 v45, 0.5, v45
	v_fma_f16 v42, v69, s5, v42
	v_sub_f16_e32 v40, v47, v40
	v_sub_f16_e32 v47, v64, v68
	v_add_f16_e32 v64, v71, v73
	v_mul_f16_sdwa v74, v109, v104 dst_sel:DWORD dst_unused:UNUSED_PAD src0_sel:DWORD src1_sel:WORD_1
	v_fma_f16 v78, v69, -0.5, v78
	v_fma_f16 v45, v77, s5, v45
	v_add_f16_e32 v69, v37, v42
	v_sub_f16_e32 v37, v37, v42
	v_add_f16_e32 v42, v24, v71
	v_fma_f16 v24, v64, -0.5, v24
	v_sub_f16_e32 v64, v35, v33
	v_fma_f16 v74, v39, v104, v74
	v_mul_f16_sdwa v39, v39, v104 dst_sel:DWORD dst_unused:UNUSED_PAD src0_sel:DWORD src1_sel:WORD_1
	v_add_f16_e32 v77, v67, v45
	v_sub_f16_e32 v45, v67, v45
	v_fma_f16 v67, v64, s4, v24
	v_fma_f16 v24, v64, s5, v24
	v_add_f16_e32 v64, v85, v35
	v_fma_f16 v39, v109, v104, -v39
	v_add_f16_e32 v64, v64, v33
	v_add_f16_e32 v33, v35, v33
	v_sub_f16_e32 v35, v71, v73
	v_add_f16_e32 v71, v72, v74
	v_add_f16_e32 v42, v42, v73
	v_fma_f16 v71, v71, -0.5, v79
	v_sub_f16_e32 v73, v38, v39
	v_add_f16_e32 v88, v26, v87
	v_sub_f16_e32 v26, v26, v87
	v_add_f16_e32 v87, v63, v76
	v_sub_f16_e32 v63, v63, v76
	v_fma_f16 v76, v73, s4, v71
	v_fma_f16 v71, v73, s5, v71
	v_add_f16_e32 v73, v36, v38
	v_add_f16_e32 v38, v38, v39
	v_fma_f16 v36, v38, -0.5, v36
	v_sub_f16_e32 v38, v72, v74
	v_fma_f16 v33, v33, -0.5, v85
	v_add_f16_e32 v73, v73, v39
	v_fma_f16 v39, v38, s5, v36
	v_fma_f16 v68, v35, s5, v33
	v_fma_f16 v33, v35, s4, v33
	v_add_f16_e32 v35, v79, v72
	v_fma_f16 v36, v38, s4, v36
	v_mul_f16_e32 v72, 0xbaee, v39
	v_add_f16_e32 v84, v25, v78
	v_sub_f16_e32 v25, v25, v78
	v_add_f16_e32 v35, v35, v74
	v_fma_f16 v72, v76, 0.5, v72
	v_mul_f16_e32 v78, 0xbaee, v36
	v_mul_f16_e32 v36, -0.5, v36
	v_add_f16_e32 v38, v42, v35
	v_add_f16_e32 v74, v67, v72
	v_mul_f16_e32 v39, 0.5, v39
	v_fma_f16 v36, v71, s5, v36
	v_sub_f16_e32 v35, v42, v35
	v_sub_f16_e32 v42, v67, v72
	v_add_f16_e32 v67, v32, v29
	v_fma_f16 v78, v71, -0.5, v78
	v_fma_f16 v39, v76, s5, v39
	v_add_f16_e32 v71, v33, v36
	v_sub_f16_e32 v33, v33, v36
	v_add_f16_e32 v36, v8, v32
	v_fma_f16 v8, v67, -0.5, v8
	v_sub_f16_e32 v67, v21, v23
	v_add_f16_e32 v76, v68, v39
	v_sub_f16_e32 v39, v68, v39
	v_fma_f16 v68, v67, s4, v8
	v_fma_f16 v8, v67, s5, v8
	v_add_f16_e32 v67, v19, v21
	v_add_f16_e32 v21, v21, v23
	;; [unrolled: 1-line block ×3, first 2 shown]
	v_fma_f16 v19, v21, -0.5, v19
	v_sub_f16_e32 v21, v32, v29
	v_add_f16_e32 v29, v34, v30
	v_fma_f16 v29, v29, -0.5, v80
	v_sub_f16_e32 v32, v22, v31
	v_fma_f16 v72, v32, s4, v29
	v_fma_f16 v29, v32, s5, v29
	v_add_f16_e32 v32, v20, v22
	v_add_f16_e32 v22, v22, v31
	;; [unrolled: 1-line block ×3, first 2 shown]
	v_fma_f16 v23, v21, s5, v19
	v_fma_f16 v19, v21, s4, v19
	v_add_f16_e32 v21, v80, v34
	v_fma_f16 v20, v22, -0.5, v20
	v_sub_f16_e32 v22, v34, v30
	v_add_f16_e32 v21, v21, v30
	v_fma_f16 v30, v22, s5, v20
	v_fma_f16 v20, v22, s4, v20
	v_add_f16_e32 v85, v64, v73
	v_sub_f16_e32 v64, v64, v73
	v_mul_f16_e32 v73, 0xbaee, v20
	v_mul_f16_e32 v20, -0.5, v20
	v_fma_f16 v20, v29, s5, v20
	v_add_f16_e32 v32, v32, v31
	v_mul_f16_e32 v31, 0xbaee, v30
	v_fma_f16 v73, v29, -0.5, v73
	v_mul_f16_e32 v30, 0.5, v30
	v_add_f16_e32 v29, v19, v20
	v_sub_f16_e32 v19, v19, v20
	v_mov_b32_e32 v20, 1
	v_fma_f16 v30, v72, s5, v30
	v_lshlrev_b32_sdwa v12, v20, v12 dst_sel:DWORD dst_unused:UNUSED_PAD src0_sel:DWORD src1_sel:BYTE_0
	v_fma_f16 v31, v72, 0.5, v31
	v_add_f16_e32 v72, v23, v30
	v_sub_f16_e32 v23, v23, v30
	v_add3_u32 v30, 0, v11, v12
	v_mul_u32_u24_e32 v11, 0x78, v13
	v_lshlrev_b32_sdwa v12, v20, v14 dst_sel:DWORD dst_unused:UNUSED_PAD src0_sel:DWORD src1_sel:BYTE_0
	ds_write_b16 v30, v58
	ds_write_b16 v30, v92 offset:20
	ds_write_b16 v30, v94 offset:40
	ds_write_b16 v30, v57 offset:60
	ds_write_b16 v30, v75 offset:80
	ds_write_b16 v30, v28 offset:100
	v_add3_u32 v28, 0, v11, v12
	v_mul_u32_u24_e32 v11, 0x78, v15
	v_lshlrev_b32_sdwa v12, v20, v16 dst_sel:DWORD dst_unused:UNUSED_PAD src0_sel:DWORD src1_sel:BYTE_0
	v_add3_u32 v15, 0, v11, v12
	v_mul_u32_u24_e32 v11, 0x78, v17
	v_lshlrev_b32_sdwa v12, v20, v18 dst_sel:DWORD dst_unused:UNUSED_PAD src0_sel:DWORD src1_sel:BYTE_0
	v_add3_u32 v16, 0, v11, v12
	v_mul_u32_u24_e32 v11, 0x78, v111
	v_lshlrev_b32_e32 v12, 1, v115
	v_add3_u32 v17, 0, v11, v12
	v_mul_u32_u24_e32 v11, 0x78, v117
	v_lshlrev_b32_e32 v12, 1, v118
	v_add_f16_e32 v79, v24, v78
	v_sub_f16_e32 v24, v24, v78
	v_add_f16_e32 v22, v36, v21
	v_add_f16_e32 v78, v8, v73
	v_sub_f16_e32 v8, v8, v73
	v_add3_u32 v18, 0, v11, v12
	v_add_f16_e32 v34, v68, v31
	v_sub_f16_e32 v21, v36, v21
	v_sub_f16_e32 v31, v68, v31
	ds_write_b16 v28, v50
	ds_write_b16 v28, v62 offset:20
	ds_write_b16 v28, v91 offset:40
	ds_write_b16 v28, v52 offset:60
	ds_write_b16 v28, v55 offset:80
	ds_write_b16 v28, v27 offset:100
	ds_write_b16 v15, v48
	ds_write_b16 v15, v66 offset:20
	ds_write_b16 v15, v88 offset:40
	ds_write_b16 v15, v46 offset:60
	ds_write_b16 v15, v51 offset:80
	ds_write_b16 v15, v26 offset:100
	;; [unrolled: 6-line block ×5, first 2 shown]
	v_mul_u32_u24_e32 v8, 5, v9
	v_lshlrev_b32_e32 v8, 2, v8
	v_add_f16_e32 v80, v67, v32
	v_sub_f16_e32 v32, v67, v32
	s_waitcnt lgkmcnt(0)
	; wave barrier
	s_waitcnt lgkmcnt(0)
	ds_read_u16 v36, v0 offset:840
	ds_read_u16 v38, v0 offset:3720
	;; [unrolled: 1-line block ×5, first 2 shown]
	ds_read_u16 v46, v0
	ds_read_u16 v47, v0 offset:120
	ds_read_u16 v14, v0 offset:240
	;; [unrolled: 1-line block ×30, first 2 shown]
	s_waitcnt lgkmcnt(0)
	; wave barrier
	s_waitcnt lgkmcnt(0)
	ds_write_b16 v30, v95
	ds_write_b16 v30, v90 offset:20
	ds_write_b16 v30, v56 offset:40
	ds_write_b16 v30, v86 offset:60
	ds_write_b16 v30, v81 offset:80
	ds_write_b16 v30, v54 offset:100
	ds_write_b16 v28, v93
	ds_write_b16 v28, v82 offset:20
	ds_write_b16 v28, v61 offset:40
	ds_write_b16 v28, v60 offset:60
	ds_write_b16 v28, v53 offset:80
	ds_write_b16 v28, v43 offset:100
	;; [unrolled: 6-line block ×6, first 2 shown]
	s_waitcnt lgkmcnt(0)
	; wave barrier
	s_waitcnt lgkmcnt(0)
	global_load_dwordx4 v[16:19], v8, s[12:13] offset:200
	global_load_dword v37, v8, s[12:13] offset:216
	v_mul_lo_u16_sdwa v20, v10, s6 dst_sel:DWORD dst_unused:UNUSED_PAD src0_sel:BYTE_0 src1_sel:DWORD
	v_lshrrev_b16_e32 v20, 13, v20
	v_mul_lo_u16_e32 v20, 60, v20
	ds_read_u16 v39, v0 offset:840
	ds_read_u16 v41, v0 offset:3720
	ds_read_u16 v43, v0 offset:1560
	ds_read_u16 v45, v0 offset:1680
	ds_read_u16 v49, v0 offset:1800
	ds_read_u16 v53, v0
	ds_read_u16 v54, v0 offset:120
	ds_read_u16 v56, v0 offset:240
	;; [unrolled: 1-line block ×17, first 2 shown]
	v_sub_u16_e32 v10, v10, v20
	v_and_b32_e32 v10, 0xff, v10
	v_mul_u32_u24_e32 v20, 5, v10
	v_lshlrev_b32_e32 v24, 2, v20
	global_load_dwordx4 v[20:23], v24, s[12:13] offset:200
	ds_read_u16 v80, v0 offset:2280
	ds_read_u16 v81, v0 offset:2400
	;; [unrolled: 1-line block ×9, first 2 shown]
	global_load_dword v90, v24, s[12:13] offset:216
	v_mul_lo_u16_sdwa v24, v5, s6 dst_sel:DWORD dst_unused:UNUSED_PAD src0_sel:BYTE_0 src1_sel:DWORD
	v_lshrrev_b16_e32 v24, 13, v24
	s_mov_b32 s6, 0x8889
	v_mul_lo_u16_e32 v24, 60, v24
	v_sub_u16_e32 v5, v5, v24
	v_and_b32_e32 v5, 0xff, v5
	v_mul_u32_u24_e32 v24, 5, v5
	v_lshlrev_b32_e32 v30, 2, v24
	global_load_dwordx4 v[24:27], v30, s[12:13] offset:200
	ds_read_u16 v93, v0 offset:3840
	ds_read_u16 v95, v0 offset:3960
	;; [unrolled: 1-line block ×4, first 2 shown]
	global_load_dword v103, v30, s[12:13] offset:216
	v_lshl_add_u32 v5, v5, 1, 0
	s_waitcnt vmcnt(5) lgkmcnt(14)
	v_mul_f16_sdwa v98, v28, v16 dst_sel:DWORD dst_unused:UNUSED_PAD src0_sel:DWORD src1_sel:WORD_1
	v_fma_f16 v98, v31, v16, v98
	v_mul_f16_sdwa v31, v31, v16 dst_sel:DWORD dst_unused:UNUSED_PAD src0_sel:DWORD src1_sel:WORD_1
	v_fma_f16 v99, v28, v16, -v31
	v_mul_f16_sdwa v28, v29, v17 dst_sel:DWORD dst_unused:UNUSED_PAD src0_sel:DWORD src1_sel:WORD_1
	v_fma_f16 v100, v35, v17, v28
	v_mul_f16_sdwa v28, v35, v17 dst_sel:DWORD dst_unused:UNUSED_PAD src0_sel:DWORD src1_sel:WORD_1
	v_fma_f16 v101, v29, v17, -v28
	s_waitcnt lgkmcnt(7)
	v_mul_f16_sdwa v28, v33, v18 dst_sel:DWORD dst_unused:UNUSED_PAD src0_sel:DWORD src1_sel:WORD_1
	v_fma_f16 v102, v75, v18, v28
	v_mul_f16_sdwa v75, v75, v18 dst_sel:DWORD dst_unused:UNUSED_PAD src0_sel:DWORD src1_sel:WORD_1
	v_fma_f16 v75, v33, v18, -v75
	v_mul_f16_sdwa v33, v32, v19 dst_sel:DWORD dst_unused:UNUSED_PAD src0_sel:DWORD src1_sel:WORD_1
	v_fma_f16 v104, v34, v19, v33
	v_mul_f16_sdwa v33, v34, v19 dst_sel:DWORD dst_unused:UNUSED_PAD src0_sel:DWORD src1_sel:WORD_1
	v_fma_f16 v105, v32, v19, -v33
	s_waitcnt vmcnt(4) lgkmcnt(5)
	v_mul_f16_sdwa v32, v87, v37 dst_sel:DWORD dst_unused:UNUSED_PAD src0_sel:DWORD src1_sel:WORD_1
	v_fma_f16 v106, v79, v37, v32
	v_mul_f16_sdwa v32, v79, v37 dst_sel:DWORD dst_unused:UNUSED_PAD src0_sel:DWORD src1_sel:WORD_1
	v_mul_u32_u24_sdwa v28, v6, s6 dst_sel:DWORD dst_unused:UNUSED_PAD src0_sel:WORD_0 src1_sel:DWORD
	v_fma_f16 v79, v87, v37, -v32
	v_mul_f16_sdwa v32, v39, v16 dst_sel:DWORD dst_unused:UNUSED_PAD src0_sel:DWORD src1_sel:WORD_1
	v_lshrrev_b32_e32 v28, 21, v28
	v_fma_f16 v87, v36, v16, v32
	v_mul_u32_u24_sdwa v32, v7, s6 dst_sel:DWORD dst_unused:UNUSED_PAD src0_sel:WORD_0 src1_sel:DWORD
	v_mul_lo_u16_e32 v28, 60, v28
	v_lshrrev_b32_e32 v32, 21, v32
	v_sub_u16_e32 v6, v6, v28
	v_mul_lo_u16_e32 v32, 60, v32
	v_mul_f16_sdwa v36, v36, v16 dst_sel:DWORD dst_unused:UNUSED_PAD src0_sel:DWORD src1_sel:WORD_1
	v_mul_u32_u24_e32 v28, 5, v6
	v_sub_u16_e32 v108, v7, v32
	v_fma_f16 v16, v39, v16, -v36
	v_mul_f16_sdwa v36, v43, v17 dst_sel:DWORD dst_unused:UNUSED_PAD src0_sel:DWORD src1_sel:WORD_1
	v_mul_f16_sdwa v39, v40, v17 dst_sel:DWORD dst_unused:UNUSED_PAD src0_sel:DWORD src1_sel:WORD_1
	v_lshlrev_b32_e32 v35, 2, v28
	global_load_dword v107, v35, s[12:13] offset:216
	v_mul_u32_u24_e32 v32, 5, v108
	v_fma_f16 v36, v40, v17, v36
	v_fma_f16 v17, v43, v17, -v39
	v_mul_f16_sdwa v39, v80, v18 dst_sel:DWORD dst_unused:UNUSED_PAD src0_sel:DWORD src1_sel:WORD_1
	v_mul_f16_sdwa v40, v67, v18 dst_sel:DWORD dst_unused:UNUSED_PAD src0_sel:DWORD src1_sel:WORD_1
	global_load_dwordx4 v[28:31], v35, s[12:13] offset:200
	v_lshlrev_b32_e32 v109, 2, v32
	v_fma_f16 v39, v67, v18, v39
	v_fma_f16 v18, v80, v18, -v40
	v_mul_f16_sdwa v40, v69, v19 dst_sel:DWORD dst_unused:UNUSED_PAD src0_sel:DWORD src1_sel:WORD_1
	v_fma_f16 v40, v55, v19, v40
	v_mul_f16_sdwa v43, v55, v19 dst_sel:DWORD dst_unused:UNUSED_PAD src0_sel:DWORD src1_sel:WORD_1
	global_load_dword v55, v109, s[12:13] offset:216
	global_load_dwordx4 v[32:35], v109, s[12:13] offset:200
	v_fma_f16 v19, v69, v19, -v43
	v_mul_f16_sdwa v43, v41, v37 dst_sel:DWORD dst_unused:UNUSED_PAD src0_sel:DWORD src1_sel:WORD_1
	v_fma_f16 v43, v38, v37, v43
	v_mul_f16_sdwa v38, v38, v37 dst_sel:DWORD dst_unused:UNUSED_PAD src0_sel:DWORD src1_sel:WORD_1
	v_fma_f16 v37, v41, v37, -v38
	s_waitcnt vmcnt(7)
	v_mul_f16_sdwa v38, v61, v20 dst_sel:DWORD dst_unused:UNUSED_PAD src0_sel:DWORD src1_sel:WORD_1
	v_mul_f16_sdwa v41, v48, v20 dst_sel:DWORD dst_unused:UNUSED_PAD src0_sel:DWORD src1_sel:WORD_1
	v_fma_f16 v38, v48, v20, v38
	v_fma_f16 v20, v61, v20, -v41
	v_mul_f16_sdwa v41, v45, v21 dst_sel:DWORD dst_unused:UNUSED_PAD src0_sel:DWORD src1_sel:WORD_1
	v_fma_f16 v41, v42, v21, v41
	v_mul_f16_sdwa v42, v42, v21 dst_sel:DWORD dst_unused:UNUSED_PAD src0_sel:DWORD src1_sel:WORD_1
	s_waitcnt vmcnt(5)
	v_mul_f16_sdwa v61, v63, v24 dst_sel:DWORD dst_unused:UNUSED_PAD src0_sel:DWORD src1_sel:WORD_1
	v_fma_f16 v21, v45, v21, -v42
	v_mul_f16_sdwa v42, v81, v22 dst_sel:DWORD dst_unused:UNUSED_PAD src0_sel:DWORD src1_sel:WORD_1
	v_fma_f16 v61, v50, v24, v61
	v_mul_f16_sdwa v50, v50, v24 dst_sel:DWORD dst_unused:UNUSED_PAD src0_sel:DWORD src1_sel:WORD_1
	v_fma_f16 v42, v68, v22, v42
	v_mul_f16_sdwa v45, v68, v22 dst_sel:DWORD dst_unused:UNUSED_PAD src0_sel:DWORD src1_sel:WORD_1
	v_fma_f16 v24, v63, v24, -v50
	v_mul_f16_sdwa v50, v49, v25 dst_sel:DWORD dst_unused:UNUSED_PAD src0_sel:DWORD src1_sel:WORD_1
	v_fma_f16 v50, v44, v25, v50
	v_mul_f16_sdwa v44, v44, v25 dst_sel:DWORD dst_unused:UNUSED_PAD src0_sel:DWORD src1_sel:WORD_1
	v_fma_f16 v25, v49, v25, -v44
	v_mul_f16_sdwa v44, v82, v26 dst_sel:DWORD dst_unused:UNUSED_PAD src0_sel:DWORD src1_sel:WORD_1
	v_mul_f16_sdwa v49, v70, v26 dst_sel:DWORD dst_unused:UNUSED_PAD src0_sel:DWORD src1_sel:WORD_1
	v_fma_f16 v22, v81, v22, -v45
	v_mul_f16_sdwa v45, v71, v23 dst_sel:DWORD dst_unused:UNUSED_PAD src0_sel:DWORD src1_sel:WORD_1
	v_mul_f16_sdwa v48, v57, v23 dst_sel:DWORD dst_unused:UNUSED_PAD src0_sel:DWORD src1_sel:WORD_1
	v_fma_f16 v44, v70, v26, v44
	v_fma_f16 v26, v82, v26, -v49
	v_mul_f16_sdwa v49, v72, v27 dst_sel:DWORD dst_unused:UNUSED_PAD src0_sel:DWORD src1_sel:WORD_1
	v_fma_f16 v45, v57, v23, v45
	v_fma_f16 v23, v71, v23, -v48
	v_fma_f16 v49, v58, v27, v49
	v_mul_f16_sdwa v58, v58, v27 dst_sel:DWORD dst_unused:UNUSED_PAD src0_sel:DWORD src1_sel:WORD_1
	v_sub_f16_e32 v80, v75, v79
	v_fma_f16 v27, v72, v27, -v58
	s_waitcnt lgkmcnt(3)
	v_mul_f16_sdwa v48, v93, v90 dst_sel:DWORD dst_unused:UNUSED_PAD src0_sel:DWORD src1_sel:WORD_1
	v_fma_f16 v48, v88, v90, v48
	v_mul_f16_sdwa v57, v88, v90 dst_sel:DWORD dst_unused:UNUSED_PAD src0_sel:DWORD src1_sel:WORD_1
	v_fma_f16 v57, v93, v90, -v57
	s_waitcnt vmcnt(4) lgkmcnt(2)
	v_mul_f16_sdwa v58, v95, v103 dst_sel:DWORD dst_unused:UNUSED_PAD src0_sel:DWORD src1_sel:WORD_1
	v_fma_f16 v58, v91, v103, v58
	v_mul_f16_sdwa v63, v91, v103 dst_sel:DWORD dst_unused:UNUSED_PAD src0_sel:DWORD src1_sel:WORD_1
	v_fma_f16 v63, v95, v103, -v63
	s_waitcnt lgkmcnt(0)
	; wave barrier
	s_waitcnt lgkmcnt(0)
	v_lshl_add_u32 v6, v6, 1, 0
	s_waitcnt vmcnt(2)
	v_mul_f16_sdwa v67, v64, v28 dst_sel:DWORD dst_unused:UNUSED_PAD src0_sel:DWORD src1_sel:WORD_1
	v_fma_f16 v67, v51, v28, v67
	v_mul_f16_sdwa v51, v51, v28 dst_sel:DWORD dst_unused:UNUSED_PAD src0_sel:DWORD src1_sel:WORD_1
	v_fma_f16 v28, v64, v28, -v51
	v_mul_f16_sdwa v51, v65, v29 dst_sel:DWORD dst_unused:UNUSED_PAD src0_sel:DWORD src1_sel:WORD_1
	v_fma_f16 v51, v52, v29, v51
	v_mul_f16_sdwa v52, v52, v29 dst_sel:DWORD dst_unused:UNUSED_PAD src0_sel:DWORD src1_sel:WORD_1
	v_fma_f16 v29, v65, v29, -v52
	s_waitcnt vmcnt(0)
	v_mul_f16_sdwa v68, v77, v32 dst_sel:DWORD dst_unused:UNUSED_PAD src0_sel:DWORD src1_sel:WORD_1
	v_fma_f16 v68, v66, v32, v68
	v_mul_f16_sdwa v66, v66, v32 dst_sel:DWORD dst_unused:UNUSED_PAD src0_sel:DWORD src1_sel:WORD_1
	v_fma_f16 v32, v77, v32, -v66
	v_mul_f16_sdwa v66, v86, v33 dst_sel:DWORD dst_unused:UNUSED_PAD src0_sel:DWORD src1_sel:WORD_1
	v_mul_f16_sdwa v69, v78, v33 dst_sel:DWORD dst_unused:UNUSED_PAD src0_sel:DWORD src1_sel:WORD_1
	;; [unrolled: 1-line block ×4, first 2 shown]
	v_fma_f16 v66, v78, v33, v66
	v_fma_f16 v33, v86, v33, -v69
	v_mul_f16_sdwa v69, v85, v34 dst_sel:DWORD dst_unused:UNUSED_PAD src0_sel:DWORD src1_sel:WORD_1
	v_mul_f16_sdwa v70, v74, v34 dst_sel:DWORD dst_unused:UNUSED_PAD src0_sel:DWORD src1_sel:WORD_1
	v_add_f16_e32 v78, v102, v106
	v_fma_f16 v52, v73, v30, v52
	v_fma_f16 v30, v83, v30, -v64
	v_mul_f16_sdwa v64, v76, v31 dst_sel:DWORD dst_unused:UNUSED_PAD src0_sel:DWORD src1_sel:WORD_1
	v_fma_f16 v69, v74, v34, v69
	v_fma_f16 v34, v85, v34, -v70
	v_mul_f16_sdwa v70, v89, v35 dst_sel:DWORD dst_unused:UNUSED_PAD src0_sel:DWORD src1_sel:WORD_1
	v_mul_f16_sdwa v71, v84, v35 dst_sel:DWORD dst_unused:UNUSED_PAD src0_sel:DWORD src1_sel:WORD_1
	v_fma_f16 v78, v78, -0.5, v98
	v_fma_f16 v64, v62, v31, v64
	v_mul_f16_sdwa v62, v62, v31 dst_sel:DWORD dst_unused:UNUSED_PAD src0_sel:DWORD src1_sel:WORD_1
	v_fma_f16 v70, v84, v35, v70
	v_fma_f16 v35, v89, v35, -v71
	v_mul_f16_sdwa v71, v97, v55 dst_sel:DWORD dst_unused:UNUSED_PAD src0_sel:DWORD src1_sel:WORD_1
	v_mul_f16_sdwa v72, v94, v55 dst_sel:DWORD dst_unused:UNUSED_PAD src0_sel:DWORD src1_sel:WORD_1
	v_add_f16_e32 v73, v100, v104
	v_fma_f16 v81, v80, s4, v78
	v_fma_f16 v78, v80, s5, v78
	v_add_f16_e32 v80, v99, v75
	v_add_f16_e32 v75, v75, v79
	v_fma_f16 v31, v76, v31, -v62
	v_fma_f16 v71, v94, v55, v71
	v_fma_f16 v55, v97, v55, -v72
	v_add_f16_e32 v72, v46, v100
	v_fma_f16 v46, v73, -0.5, v46
	v_sub_f16_e32 v73, v101, v105
	v_add_f16_e32 v76, v101, v105
	v_add_f16_e32 v80, v80, v79
	v_fma_f16 v75, v75, -0.5, v99
	v_sub_f16_e32 v79, v102, v106
	v_fma_f16 v74, v73, s4, v46
	v_fma_f16 v46, v73, s5, v46
	v_add_f16_e32 v73, v53, v101
	v_fma_f16 v53, v76, -0.5, v53
	v_sub_f16_e32 v76, v100, v104
	v_fma_f16 v82, v79, s5, v75
	v_fma_f16 v77, v76, s5, v53
	;; [unrolled: 1-line block ×3, first 2 shown]
	v_add_f16_e32 v76, v98, v102
	v_fma_f16 v75, v79, s4, v75
	v_mul_f16_e32 v83, 0xbaee, v82
	v_mul_f16_e32 v82, 0.5, v82
	v_add_f16_e32 v72, v72, v104
	v_add_f16_e32 v76, v76, v106
	v_fma_f16 v83, v81, 0.5, v83
	v_mul_f16_e32 v85, 0xbaee, v75
	v_fma_f16 v81, v81, s5, v82
	v_mul_f16_e32 v75, -0.5, v75
	v_add_f16_e32 v79, v72, v76
	v_add_f16_e32 v82, v77, v81
	v_fma_f16 v75, v78, s5, v75
	v_sub_f16_e32 v72, v72, v76
	v_sub_f16_e32 v76, v77, v81
	v_add_f16_e32 v77, v36, v40
	v_add_f16_e32 v73, v73, v105
	v_fma_f16 v85, v78, -0.5, v85
	v_add_f16_e32 v78, v53, v75
	v_sub_f16_e32 v53, v53, v75
	v_add_f16_e32 v75, v47, v36
	v_fma_f16 v47, v77, -0.5, v47
	v_sub_f16_e32 v77, v17, v19
	v_add_f16_e32 v88, v73, v80
	v_sub_f16_e32 v73, v73, v80
	v_fma_f16 v80, v77, s4, v47
	v_fma_f16 v47, v77, s5, v47
	v_add_f16_e32 v77, v54, v17
	v_add_f16_e32 v75, v75, v40
	v_add_f16_e32 v77, v77, v19
	v_add_f16_e32 v17, v17, v19
	v_sub_f16_e32 v19, v36, v40
	v_add_f16_e32 v40, v39, v43
	v_fma_f16 v17, v17, -0.5, v54
	v_fma_f16 v40, v40, -0.5, v87
	v_sub_f16_e32 v54, v18, v37
	v_fma_f16 v81, v54, s4, v40
	v_fma_f16 v40, v54, s5, v40
	v_add_f16_e32 v54, v16, v18
	v_add_f16_e32 v18, v18, v37
	v_fma_f16 v16, v18, -0.5, v16
	v_sub_f16_e32 v18, v39, v43
	v_add_f16_e32 v54, v54, v37
	v_fma_f16 v37, v18, s5, v16
	v_fma_f16 v16, v18, s4, v16
	v_add_f16_e32 v84, v74, v83
	v_sub_f16_e32 v74, v74, v83
	v_fma_f16 v36, v19, s5, v17
	v_fma_f16 v17, v19, s4, v17
	v_add_f16_e32 v19, v87, v39
	v_mul_f16_e32 v83, 0xbaee, v16
	v_mul_f16_e32 v16, -0.5, v16
	v_add_f16_e32 v19, v19, v43
	v_fma_f16 v16, v40, s5, v16
	v_add_f16_e32 v18, v75, v19
	v_mul_f16_e32 v39, 0xbaee, v37
	v_mul_f16_e32 v37, 0.5, v37
	v_add_f16_e32 v89, v17, v16
	v_sub_f16_e32 v19, v75, v19
	v_sub_f16_e32 v75, v17, v16
	v_add_f16_e32 v17, v41, v45
	v_fma_f16 v37, v81, s5, v37
	v_add_f16_e32 v16, v14, v41
	v_fma_f16 v14, v17, -0.5, v14
	v_sub_f16_e32 v17, v21, v23
	v_fma_f16 v39, v81, 0.5, v39
	v_add_f16_e32 v81, v36, v37
	v_sub_f16_e32 v37, v36, v37
	v_fma_f16 v36, v17, s4, v14
	v_fma_f16 v14, v17, s5, v14
	v_add_f16_e32 v17, v56, v21
	v_add_f16_e32 v21, v21, v23
	;; [unrolled: 1-line block ×4, first 2 shown]
	v_fma_f16 v21, v21, -0.5, v56
	v_sub_f16_e32 v23, v41, v45
	v_add_f16_e32 v45, v42, v48
	v_fma_f16 v83, v40, -0.5, v83
	v_fma_f16 v41, v23, s5, v21
	v_fma_f16 v21, v23, s4, v21
	v_add_f16_e32 v23, v38, v42
	v_fma_f16 v38, v45, -0.5, v38
	v_sub_f16_e32 v45, v22, v57
	v_add_f16_e32 v86, v46, v85
	v_sub_f16_e32 v46, v46, v85
	v_add_f16_e32 v85, v47, v83
	v_sub_f16_e32 v40, v47, v83
	v_fma_f16 v47, v45, s4, v38
	v_fma_f16 v38, v45, s5, v38
	v_add_f16_e32 v45, v20, v22
	v_add_f16_e32 v22, v22, v57
	v_fma_f16 v20, v22, -0.5, v20
	v_sub_f16_e32 v22, v42, v48
	v_fma_f16 v42, v22, s5, v20
	v_fma_f16 v20, v22, s4, v20
	v_add_f16_e32 v23, v23, v48
	v_add_f16_e32 v45, v45, v57
	v_mul_f16_e32 v48, 0xbaee, v42
	v_mul_f16_e32 v57, 0xbaee, v20
	v_mul_f16_e32 v42, 0.5, v42
	v_mul_f16_e32 v20, -0.5, v20
	v_fma_f16 v42, v47, s5, v42
	v_fma_f16 v20, v38, s5, v20
	v_fma_f16 v57, v38, -0.5, v57
	v_add_f16_e32 v83, v41, v42
	v_add_f16_e32 v90, v21, v20
	v_sub_f16_e32 v41, v41, v42
	v_sub_f16_e32 v42, v21, v20
	v_add_f16_e32 v20, v50, v49
	v_add_f16_e32 v38, v44, v58
	v_add_f16_e32 v43, v80, v39
	v_add_f16_e32 v87, v77, v54
	v_sub_f16_e32 v39, v80, v39
	v_sub_f16_e32 v54, v77, v54
	v_add_f16_e32 v77, v14, v57
	v_add_f16_e32 v80, v17, v45
	v_sub_f16_e32 v14, v14, v57
	v_sub_f16_e32 v57, v17, v45
	v_add_f16_e32 v17, v13, v50
	v_fma_f16 v13, v20, -0.5, v13
	v_sub_f16_e32 v20, v25, v27
	v_fma_f16 v38, v38, -0.5, v61
	v_sub_f16_e32 v45, v26, v63
	v_fma_f16 v48, v47, 0.5, v48
	v_fma_f16 v21, v20, s4, v13
	v_fma_f16 v13, v20, s5, v13
	v_add_f16_e32 v20, v59, v25
	v_add_f16_e32 v25, v25, v27
	v_fma_f16 v47, v45, s4, v38
	v_fma_f16 v38, v45, s5, v38
	v_add_f16_e32 v45, v24, v26
	v_add_f16_e32 v26, v26, v63
	;; [unrolled: 1-line block ×3, first 2 shown]
	v_fma_f16 v25, v25, -0.5, v59
	v_sub_f16_e32 v27, v50, v49
	v_fma_f16 v24, v26, -0.5, v24
	v_sub_f16_e32 v26, v44, v58
	v_add_f16_e32 v22, v16, v23
	v_add_f16_e32 v56, v36, v48
	v_sub_f16_e32 v16, v16, v23
	v_sub_f16_e32 v23, v36, v48
	v_fma_f16 v36, v27, s5, v25
	v_fma_f16 v25, v27, s4, v25
	v_add_f16_e32 v27, v61, v44
	v_fma_f16 v44, v26, s5, v24
	v_mul_f16_sdwa v62, v96, v107 dst_sel:DWORD dst_unused:UNUSED_PAD src0_sel:DWORD src1_sel:WORD_1
	v_mul_f16_e32 v48, 0xbaee, v44
	v_mul_f16_e32 v44, 0.5, v44
	v_fma_f16 v62, v92, v107, v62
	v_mul_f16_sdwa v65, v92, v107 dst_sel:DWORD dst_unused:UNUSED_PAD src0_sel:DWORD src1_sel:WORD_1
	v_fma_f16 v24, v26, s4, v24
	v_fma_f16 v44, v47, s5, v44
	v_fma_f16 v65, v96, v107, -v65
	v_mul_f16_e32 v50, 0xbaee, v24
	v_add_f16_e32 v61, v36, v44
	v_mul_f16_e32 v24, -0.5, v24
	v_sub_f16_e32 v44, v36, v44
	v_add_f16_e32 v36, v52, v62
	v_add_f16_e32 v45, v45, v63
	v_fma_f16 v50, v38, -0.5, v50
	v_fma_f16 v24, v38, s5, v24
	v_fma_f16 v36, v36, -0.5, v67
	v_sub_f16_e32 v38, v30, v65
	v_add_f16_e32 v59, v20, v45
	v_sub_f16_e32 v91, v20, v45
	v_fma_f16 v45, v38, s4, v36
	v_fma_f16 v36, v38, s5, v36
	v_add_f16_e32 v38, v28, v30
	v_add_f16_e32 v30, v30, v65
	;; [unrolled: 1-line block ×5, first 2 shown]
	v_sub_f16_e32 v92, v25, v24
	v_add_f16_e32 v24, v51, v64
	v_fma_f16 v28, v30, -0.5, v28
	v_sub_f16_e32 v30, v52, v62
	v_add_f16_e32 v26, v17, v27
	v_fma_f16 v48, v47, 0.5, v48
	v_sub_f16_e32 v17, v17, v27
	v_add_f16_e32 v20, v12, v51
	v_fma_f16 v12, v24, -0.5, v12
	v_sub_f16_e32 v24, v29, v31
	v_add_f16_e32 v27, v29, v31
	v_fma_f16 v47, v30, s5, v28
	v_fma_f16 v28, v30, s4, v28
	;; [unrolled: 1-line block ×4, first 2 shown]
	v_add_f16_e32 v24, v60, v29
	v_fma_f16 v27, v27, -0.5, v60
	v_sub_f16_e32 v29, v51, v64
	v_mul_f16_e32 v51, 0xbaee, v28
	v_mul_f16_e32 v28, -0.5, v28
	v_add_f16_e32 v24, v24, v31
	v_fma_f16 v31, v29, s5, v27
	v_fma_f16 v27, v29, s4, v27
	;; [unrolled: 1-line block ×3, first 2 shown]
	v_add_f16_e32 v20, v20, v64
	v_add_f16_e32 v29, v67, v52
	;; [unrolled: 1-line block ×4, first 2 shown]
	v_sub_f16_e32 v93, v27, v28
	v_add_f16_e32 v27, v66, v70
	v_add_f16_e32 v29, v29, v62
	;; [unrolled: 1-line block ×3, first 2 shown]
	v_sub_f16_e32 v65, v24, v38
	v_add_f16_e32 v24, v11, v66
	v_fma_f16 v11, v27, -0.5, v11
	v_sub_f16_e32 v27, v33, v35
	v_add_f16_e32 v30, v20, v29
	v_sub_f16_e32 v20, v20, v29
	v_fma_f16 v28, v27, s4, v11
	v_fma_f16 v11, v27, s5, v11
	v_add_f16_e32 v27, v15, v33
	v_add_f16_e32 v29, v33, v35
	;; [unrolled: 1-line block ×4, first 2 shown]
	v_fma_f16 v33, v33, -0.5, v68
	v_sub_f16_e32 v35, v34, v55
	v_fma_f16 v51, v36, -0.5, v51
	v_fma_f16 v36, v35, s4, v33
	v_fma_f16 v33, v35, s5, v33
	v_add_f16_e32 v35, v32, v34
	v_add_f16_e32 v34, v34, v55
	;; [unrolled: 1-line block ×3, first 2 shown]
	v_sub_f16_e32 v21, v21, v48
	v_mul_f16_e32 v48, 0xbaee, v47
	v_mul_f16_e32 v47, 0.5, v47
	v_fma_f16 v32, v34, -0.5, v32
	v_sub_f16_e32 v34, v69, v71
	v_fma_f16 v48, v45, 0.5, v48
	v_fma_f16 v45, v45, s5, v47
	v_fma_f16 v15, v29, -0.5, v15
	v_sub_f16_e32 v29, v66, v70
	v_fma_f16 v38, v34, s5, v32
	v_fma_f16 v32, v34, s4, v32
	v_add_f16_e32 v58, v13, v50
	v_sub_f16_e32 v13, v13, v50
	v_add_f16_e32 v50, v25, v48
	v_add_f16_e32 v62, v31, v45
	v_sub_f16_e32 v25, v25, v48
	v_sub_f16_e32 v67, v31, v45
	v_fma_f16 v31, v29, s5, v15
	v_fma_f16 v15, v29, s4, v15
	v_add_f16_e32 v29, v68, v69
	v_mul_f16_e32 v45, 0xbaee, v38
	v_mul_f16_e32 v48, 0xbaee, v32
	v_add_f16_e32 v24, v24, v70
	v_add_f16_e32 v29, v29, v71
	v_fma_f16 v45, v36, 0.5, v45
	v_fma_f16 v48, v33, -0.5, v48
	v_mul_f16_e32 v38, 0.5, v38
	v_mul_f16_e32 v32, -0.5, v32
	v_add_f16_e32 v52, v12, v51
	v_sub_f16_e32 v12, v12, v51
	v_add_f16_e32 v35, v35, v55
	v_add_f16_e32 v34, v24, v29
	;; [unrolled: 1-line block ×4, first 2 shown]
	v_fma_f16 v36, v36, s5, v38
	v_fma_f16 v32, v33, s5, v32
	v_sub_f16_e32 v24, v24, v29
	v_sub_f16_e32 v28, v28, v45
	;; [unrolled: 1-line block ×3, first 2 shown]
	ds_write_b16 v0, v79
	ds_write_b16 v0, v84 offset:120
	ds_write_b16 v0, v86 offset:240
	;; [unrolled: 1-line block ×11, first 2 shown]
	v_lshl_add_u32 v43, v10, 1, 0
	v_lshl_add_u32 v46, v108, 1, 0
	v_add_f16_e32 v55, v27, v35
	v_add_f16_e32 v66, v31, v36
	;; [unrolled: 1-line block ×3, first 2 shown]
	v_sub_f16_e32 v69, v27, v35
	v_sub_f16_e32 v70, v31, v36
	;; [unrolled: 1-line block ×3, first 2 shown]
	ds_write_b16 v43, v22 offset:1440
	ds_write_b16 v43, v56 offset:1560
	;; [unrolled: 1-line block ×24, first 2 shown]
	s_waitcnt lgkmcnt(0)
	; wave barrier
	s_waitcnt lgkmcnt(0)
	ds_read_u16 v17, v0 offset:840
	ds_read_u16 v18, v0 offset:3720
	;; [unrolled: 1-line block ×5, first 2 shown]
	ds_read_u16 v10, v0
	ds_read_u16 v15, v0 offset:120
	ds_read_u16 v22, v0 offset:240
	;; [unrolled: 1-line block ×30, first 2 shown]
	s_waitcnt lgkmcnt(0)
	; wave barrier
	s_waitcnt lgkmcnt(0)
	ds_write_b16 v0, v88
	ds_write_b16 v0, v82 offset:120
	ds_write_b16 v0, v78 offset:240
	;; [unrolled: 1-line block ×35, first 2 shown]
	s_waitcnt lgkmcnt(0)
	; wave barrier
	s_waitcnt lgkmcnt(0)
	s_and_saveexec_b64 s[6:7], s[0:1]
	s_cbranch_execz .LBB0_21
; %bb.20:
	v_mul_u32_u24_e32 v5, 5, v7
	v_lshlrev_b32_e32 v5, 2, v5
	global_load_dwordx4 v[41:44], v5, s[12:13] offset:1400
	global_load_dword v37, v5, s[12:13] offset:1416
	v_mov_b32_e32 v5, 0xfffffed4
	v_mov_b32_e32 v6, 0
	v_mad_u32_u24 v5, v7, 5, v5
	v_mul_lo_u32 v58, s3, v3
	v_mul_lo_u32 v59, s2, v4
	v_mad_u64_u32 v[3:4], s[0:1], s2, v3, 0
	ds_read_u16 v70, v0 offset:840
	ds_read_u16 v71, v0 offset:720
	;; [unrolled: 1-line block ×24, first 2 shown]
	v_lshlrev_b64 v[52:53], 2, v[5:6]
	v_mov_b32_e32 v46, s13
	v_add_co_u32_e32 v56, vcc, s12, v52
	v_addc_co_u32_e32 v57, vcc, v46, v53, vcc
	global_load_dwordx4 v[52:55], v[56:57], off offset:1400
	global_load_dword v86, v[56:57], off offset:1416
	v_add_co_u32_e32 v66, vcc, s12, v8
	v_add3_u32 v4, v4, v59, v58
	v_addc_co_u32_e32 v67, vcc, 0, v46, vcc
	s_mov_b32 s0, 0x16c16c17
	v_lshlrev_b64 v[3:4], 2, v[3:4]
	s_movk_i32 s1, 0x1000
	s_waitcnt vmcnt(3)
	v_mul_f16_sdwa v5, v31, v42 dst_sel:DWORD dst_unused:UNUSED_PAD src0_sel:DWORD src1_sel:WORD_1
	v_mul_f16_sdwa v8, v32, v44 dst_sel:DWORD dst_unused:UNUSED_PAD src0_sel:DWORD src1_sel:WORD_1
	s_waitcnt lgkmcnt(13)
	v_mul_f16_sdwa v56, v64, v42 dst_sel:DWORD dst_unused:UNUSED_PAD src0_sel:DWORD src1_sel:WORD_1
	s_waitcnt lgkmcnt(9)
	v_mul_f16_sdwa v57, v68, v44 dst_sel:DWORD dst_unused:UNUSED_PAD src0_sel:DWORD src1_sel:WORD_1
	v_mul_f16_sdwa v59, v43, v61 dst_sel:DWORD dst_unused:UNUSED_PAD src0_sel:WORD_1 src1_sel:DWORD
	s_waitcnt vmcnt(2) lgkmcnt(1)
	v_mul_f16_sdwa v87, v37, v84 dst_sel:DWORD dst_unused:UNUSED_PAD src0_sel:WORD_1 src1_sel:DWORD
	v_mul_f16_sdwa v88, v30, v43 dst_sel:DWORD dst_unused:UNUSED_PAD src0_sel:DWORD src1_sel:WORD_1
	v_mul_f16_sdwa v89, v36, v37 dst_sel:DWORD dst_unused:UNUSED_PAD src0_sel:DWORD src1_sel:WORD_1
	;; [unrolled: 1-line block ×3, first 2 shown]
	v_mul_f16_sdwa v58, v41, v82 dst_sel:DWORD dst_unused:UNUSED_PAD src0_sel:WORD_1 src1_sel:DWORD
	v_fma_f16 v5, v42, v64, -v5
	v_fma_f16 v64, v44, v68, -v8
	v_fma_f16 v42, v31, v42, v56
	v_fma_f16 v44, v32, v44, v57
	v_fma_f16 v57, v30, v43, v59
	v_fma_f16 v36, v36, v37, v87
	v_fma_f16 v30, v43, v61, -v88
	v_fma_f16 v31, v37, v84, -v89
	;; [unrolled: 1-line block ×3, first 2 shown]
	v_fma_f16 v56, v29, v41, v58
	v_add_f16_e32 v37, v57, v36
	v_sub_f16_e32 v41, v30, v31
	v_add_f16_e32 v43, v30, v31
	v_add_f16_e32 v30, v32, v30
	;; [unrolled: 1-line block ×3, first 2 shown]
	v_sub_f16_e32 v58, v57, v36
	v_fma_f16 v37, v37, -0.5, v56
	v_fma_f16 v43, v43, -0.5, v32
	v_add_f16_e32 v88, v30, v31
	v_add_f16_e32 v30, v42, v44
	;; [unrolled: 1-line block ×3, first 2 shown]
	v_fma_f16 v8, v8, -0.5, v60
	v_fma_f16 v60, v41, s5, v37
	v_fma_f16 v37, v41, s4, v37
	;; [unrolled: 1-line block ×3, first 2 shown]
	v_fma_f16 v32, v30, -0.5, v34
	v_sub_f16_e32 v5, v5, v64
	v_add_f16_e32 v87, v59, v64
	v_fma_f16 v64, v5, s5, v32
	v_fma_f16 v90, v5, s4, v32
	v_mul_f16_e32 v5, 0xbaee, v41
	v_fma_f16 v91, v37, 0.5, v5
	v_add_f16_e32 v5, v34, v42
	v_sub_f16_e32 v29, v42, v44
	v_add_f16_e32 v44, v5, v44
	v_add_f16_e32 v5, v56, v57
	;; [unrolled: 1-line block ×3, first 2 shown]
	v_mov_b32_e32 v5, 0xfffffda8
	v_fma_f16 v68, v29, s4, v8
	v_fma_f16 v82, v29, s5, v8
	v_mul_f16_e32 v29, 0.5, v41
	v_mad_u32_u24 v5, v7, 5, v5
	v_fma_f16 v84, v37, s5, v29
	v_lshlrev_b64 v[36:37], 2, v[5:6]
	v_fma_f16 v61, v58, s4, v43
	v_add_co_u32_e32 v56, vcc, s12, v36
	v_mul_f16_e32 v8, -0.5, v61
	v_mul_f16_e32 v30, 0xbaee, v61
	v_addc_co_u32_e32 v57, vcc, v46, v37, vcc
	v_fma_f16 v43, v60, s5, v8
	v_fma_f16 v89, v60, -0.5, v30
	global_load_dwordx4 v[58:61], v[56:57], off offset:1400
	v_sub_f16_e32 v32, v90, v91
	v_add_f16_e32 v42, v90, v91
	global_load_dword v91, v[56:57], off offset:1416
	s_waitcnt vmcnt(3)
	v_mul_f16_sdwa v5, v49, v53 dst_sel:DWORD dst_unused:UNUSED_PAD src0_sel:DWORD src1_sel:WORD_1
	v_fma_f16 v5, v53, v65, -v5
	v_mul_f16_sdwa v65, v65, v53 dst_sel:DWORD dst_unused:UNUSED_PAD src0_sel:DWORD src1_sel:WORD_1
	v_sub_f16_e32 v30, v64, v89
	v_add_f16_e32 v37, v64, v89
	v_mul_f16_sdwa v64, v50, v55 dst_sel:DWORD dst_unused:UNUSED_PAD src0_sel:DWORD src1_sel:WORD_1
	v_fma_f16 v53, v49, v53, v65
	v_mul_f16_sdwa v49, v69, v55 dst_sel:DWORD dst_unused:UNUSED_PAD src0_sel:DWORD src1_sel:WORD_1
	v_fma_f16 v64, v55, v69, -v64
	v_fma_f16 v55, v50, v55, v49
	v_mul_f16_sdwa v50, v52, v83 dst_sel:DWORD dst_unused:UNUSED_PAD src0_sel:WORD_1 src1_sel:DWORD
	v_fma_f16 v69, v47, v52, v50
	v_mul_f16_sdwa v50, v54, v63 dst_sel:DWORD dst_unused:UNUSED_PAD src0_sel:WORD_1 src1_sel:DWORD
	v_sub_f16_e32 v8, v68, v43
	v_sub_f16_e32 v31, v87, v88
	v_add_f16_e32 v36, v68, v43
	v_add_f16_e32 v43, v87, v88
	v_fma_f16 v88, v48, v54, v50
	s_waitcnt vmcnt(2) lgkmcnt(0)
	v_mul_f16_sdwa v50, v86, v85 dst_sel:DWORD dst_unused:UNUSED_PAD src0_sel:WORD_1 src1_sel:DWORD
	v_fma_f16 v90, v51, v86, v50
	v_mul_f16_sdwa v48, v48, v54 dst_sel:DWORD dst_unused:UNUSED_PAD src0_sel:DWORD src1_sel:WORD_1
	v_mul_f16_sdwa v51, v51, v86 dst_sel:DWORD dst_unused:UNUSED_PAD src0_sel:DWORD src1_sel:WORD_1
	;; [unrolled: 1-line block ×3, first 2 shown]
	v_fma_f16 v48, v54, v63, -v48
	v_fma_f16 v51, v86, v85, -v51
	;; [unrolled: 1-line block ×3, first 2 shown]
	v_add_f16_e32 v50, v88, v90
	v_sub_f16_e32 v54, v48, v51
	v_add_f16_e32 v47, v48, v51
	v_add_f16_e32 v48, v52, v48
	v_fma_f16 v50, v50, -0.5, v69
	v_fma_f16 v57, v47, -0.5, v52
	v_sub_f16_e32 v63, v88, v90
	v_add_f16_e32 v86, v48, v51
	v_add_f16_e32 v48, v53, v55
	;; [unrolled: 1-line block ×3, first 2 shown]
	v_fma_f16 v56, v54, s5, v50
	v_fma_f16 v83, v63, s4, v57
	v_fma_f16 v54, v54, s4, v50
	v_fma_f16 v57, v63, s5, v57
	v_add_f16_e32 v50, v62, v5
	v_fma_f16 v51, v48, -0.5, v45
	v_sub_f16_e32 v5, v5, v64
	v_sub_f16_e32 v29, v82, v84
	v_add_f16_e32 v41, v82, v84
	ds_read_u16 v82, v0 offset:3240
	ds_read_u16 v89, v0 offset:3960
	v_fma_f16 v68, v68, -0.5, v62
	v_sub_f16_e32 v49, v53, v55
	v_add_f16_e32 v62, v50, v64
	v_fma_f16 v64, v5, s5, v51
	v_fma_f16 v5, v5, s4, v51
	v_mul_f16_e32 v51, 0xbaee, v57
	v_fma_f16 v65, v49, s4, v68
	ds_read_u16 v87, v0 offset:1080
	v_fma_f16 v68, v49, s5, v68
	v_mul_f16_e32 v49, 0.5, v57
	v_mul_f16_e32 v48, 0xbaee, v83
	v_fma_f16 v57, v54, 0.5, v51
	v_add_f16_e32 v45, v45, v53
	v_sub_f16_e32 v34, v44, v92
	v_add_f16_e32 v44, v44, v92
	v_mul_f16_e32 v47, -0.5, v83
	v_fma_f16 v83, v56, -0.5, v48
	v_sub_f16_e32 v51, v5, v57
	v_add_f16_e32 v92, v45, v55
	v_add_f16_e32 v55, v5, v57
	v_sub_f16_e32 v48, v64, v83
	v_add_f16_e32 v45, v69, v88
	v_add_f16_e32 v53, v64, v83
	v_fma_f16 v85, v56, s5, v47
	v_fma_f16 v63, v54, s5, v49
	v_add_f16_e32 v69, v45, v90
	ds_read_u16 v84, v0 offset:360
	v_sub_f16_e32 v47, v65, v85
	v_sub_f16_e32 v49, v68, v63
	s_waitcnt vmcnt(1)
	v_mul_f16_sdwa v5, v35, v59 dst_sel:DWORD dst_unused:UNUSED_PAD src0_sel:DWORD src1_sel:WORD_1
	v_fma_f16 v83, v59, v78, -v5
	v_mov_b32_e32 v5, 0xfffffc7c
	v_mad_u32_u24 v5, v7, 5, v5
	v_mul_f16_sdwa v78, v78, v59 dst_sel:DWORD dst_unused:UNUSED_PAD src0_sel:DWORD src1_sel:WORD_1
	v_sub_f16_e32 v50, v62, v86
	v_sub_f16_e32 v45, v92, v69
	v_add_f16_e32 v52, v65, v85
	v_add_f16_e32 v54, v68, v63
	;; [unrolled: 1-line block ×4, first 2 shown]
	v_lshlrev_b64 v[62:63], 2, v[5:6]
	v_mul_f16_sdwa v5, v39, v61 dst_sel:DWORD dst_unused:UNUSED_PAD src0_sel:DWORD src1_sel:WORD_1
	ds_read_u16 v85, v0 offset:3120
	v_fma_f16 v35, v35, v59, v78
	s_waitcnt lgkmcnt(4)
	v_mul_f16_sdwa v59, v82, v61 dst_sel:DWORD dst_unused:UNUSED_PAD src0_sel:DWORD src1_sel:WORD_1
	v_mul_f16_sdwa v90, v60, v72 dst_sel:DWORD dst_unused:UNUSED_PAD src0_sel:WORD_1 src1_sel:DWORD
	s_waitcnt vmcnt(0) lgkmcnt(3)
	v_mul_f16_sdwa v92, v91, v89 dst_sel:DWORD dst_unused:UNUSED_PAD src0_sel:WORD_1 src1_sel:DWORD
	v_fma_f16 v5, v61, v82, -v5
	ds_read_u16 v82, v0 offset:960
	v_fma_f16 v39, v39, v61, v59
	s_waitcnt lgkmcnt(3)
	v_mul_f16_sdwa v61, v58, v87 dst_sel:DWORD dst_unused:UNUSED_PAD src0_sel:WORD_1 src1_sel:DWORD
	v_fma_f16 v90, v38, v60, v90
	v_fma_f16 v92, v40, v91, v92
	v_mul_f16_sdwa v38, v38, v60 dst_sel:DWORD dst_unused:UNUSED_PAD src0_sel:DWORD src1_sel:WORD_1
	v_mul_f16_sdwa v40, v40, v91 dst_sel:DWORD dst_unused:UNUSED_PAD src0_sel:DWORD src1_sel:WORD_1
	v_fma_f16 v61, v33, v58, v61
	v_fma_f16 v38, v60, v72, -v38
	v_fma_f16 v40, v91, v89, -v40
	v_mul_f16_sdwa v33, v33, v58 dst_sel:DWORD dst_unused:UNUSED_PAD src0_sel:DWORD src1_sel:WORD_1
	v_fma_f16 v33, v58, v87, -v33
	v_add_f16_e32 v58, v38, v40
	v_add_f16_e32 v86, v83, v5
	;; [unrolled: 1-line block ×3, first 2 shown]
	v_fma_f16 v58, v58, -0.5, v33
	v_sub_f16_e32 v87, v90, v92
	ds_read_u16 v88, v0 offset:240
	s_waitcnt lgkmcnt(3)
	v_fma_f16 v86, v86, -0.5, v84
	v_sub_f16_e32 v59, v35, v39
	v_fma_f16 v93, v93, -0.5, v61
	v_sub_f16_e32 v60, v38, v40
	v_fma_f16 v89, v87, s4, v58
	v_fma_f16 v58, v87, s5, v58
	;; [unrolled: 1-line block ×6, first 2 shown]
	v_mul_f16_e32 v60, 0.5, v58
	v_fma_f16 v87, v59, s5, v60
	v_add_f16_e32 v60, v84, v83
	v_add_f16_e32 v33, v33, v38
	;; [unrolled: 1-line block ×4, first 2 shown]
	v_fma_f16 v38, v38, -0.5, v28
	v_sub_f16_e32 v5, v83, v5
	v_fma_f16 v83, v5, s5, v38
	v_fma_f16 v95, v5, s4, v38
	v_mul_f16_e32 v5, 0xbaee, v58
	v_fma_f16 v96, v59, 0.5, v5
	v_add_f16_e32 v5, v28, v35
	v_add_f16_e32 v28, v5, v39
	;; [unrolled: 1-line block ×4, first 2 shown]
	v_mov_b32_e32 v5, 0xfffffb50
	v_mad_u32_u24 v5, v7, 5, v5
	v_add_co_u32_e32 v68, vcc, s12, v62
	v_lshlrev_b64 v[38:39], 2, v[5:6]
	v_addc_co_u32_e32 v69, vcc, v46, v63, vcc
	global_load_dwordx4 v[62:65], v[68:69], off offset:1400
	v_add_co_u32_e32 v38, vcc, s12, v38
	v_mul_f16_e32 v91, -0.5, v89
	v_mul_f16_e32 v60, 0xbaee, v89
	v_addc_co_u32_e32 v39, vcc, v46, v39, vcc
	v_fma_f16 v91, v72, s5, v91
	v_fma_f16 v72, v72, -0.5, v60
	global_load_dwordx4 v[58:61], v[38:39], off offset:1400
	v_add_f16_e32 v33, v33, v40
	global_load_dword v68, v[68:69], off offset:1416
	v_sub_f16_e32 v7, v28, v35
	global_load_dword v38, v[38:39], off offset:1416
	ds_read_u16 v69, v0 offset:3840
	v_add_f16_e32 v28, v28, v35
	v_sub_f16_e32 v40, v84, v33
	v_add_f16_e32 v33, v84, v33
	ds_read_u16 v84, v0 offset:3000
	v_sub_f16_e32 v94, v78, v91
	v_sub_f16_e32 v93, v86, v87
	v_add_f16_e32 v46, v78, v91
	v_add_f16_e32 v78, v86, v87
	ds_read_u16 v87, v0 offset:120
	v_add_co_u32_e32 v3, vcc, s10, v3
	v_sub_f16_e32 v89, v83, v72
	v_add_f16_e32 v72, v83, v72
	v_add_f16_e32 v83, v95, v96
	v_sub_f16_e32 v97, v95, v96
	s_waitcnt vmcnt(3)
	v_mul_f16_sdwa v5, v24, v63 dst_sel:DWORD dst_unused:UNUSED_PAD src0_sel:DWORD src1_sel:WORD_1
	v_fma_f16 v5, v63, v79, -v5
	v_mul_f16_sdwa v35, v26, v65 dst_sel:DWORD dst_unused:UNUSED_PAD src0_sel:DWORD src1_sel:WORD_1
	v_mul_f16_sdwa v79, v79, v63 dst_sel:DWORD dst_unused:UNUSED_PAD src0_sel:DWORD src1_sel:WORD_1
	s_waitcnt lgkmcnt(5)
	v_fma_f16 v35, v65, v85, -v35
	v_fma_f16 v24, v24, v63, v79
	v_mul_f16_sdwa v63, v85, v65 dst_sel:DWORD dst_unused:UNUSED_PAD src0_sel:DWORD src1_sel:WORD_1
	v_mul_f16_sdwa v79, v64, v73 dst_sel:DWORD dst_unused:UNUSED_PAD src0_sel:WORD_1 src1_sel:DWORD
	v_fma_f16 v26, v26, v65, v63
	s_waitcnt lgkmcnt(4)
	v_mul_f16_sdwa v65, v62, v82 dst_sel:DWORD dst_unused:UNUSED_PAD src0_sel:WORD_1 src1_sel:DWORD
	v_fma_f16 v79, v25, v64, v79
	s_waitcnt vmcnt(1) lgkmcnt(2)
	v_mul_f16_sdwa v85, v68, v69 dst_sel:DWORD dst_unused:UNUSED_PAD src0_sel:WORD_1 src1_sel:DWORD
	v_fma_f16 v85, v27, v68, v85
	v_mul_f16_sdwa v25, v25, v64 dst_sel:DWORD dst_unused:UNUSED_PAD src0_sel:DWORD src1_sel:WORD_1
	v_mul_f16_sdwa v27, v27, v68 dst_sel:DWORD dst_unused:UNUSED_PAD src0_sel:DWORD src1_sel:WORD_1
	v_fma_f16 v65, v23, v62, v65
	v_fma_f16 v25, v64, v73, -v25
	v_fma_f16 v27, v68, v69, -v27
	v_mul_f16_sdwa v23, v23, v62 dst_sel:DWORD dst_unused:UNUSED_PAD src0_sel:DWORD src1_sel:WORD_1
	v_fma_f16 v23, v62, v82, -v23
	v_add_f16_e32 v62, v25, v27
	v_fma_f16 v62, v62, -0.5, v23
	v_add_f16_e32 v23, v23, v25
	v_add_f16_e32 v86, v5, v35
	;; [unrolled: 1-line block ×3, first 2 shown]
	v_sub_f16_e32 v64, v25, v27
	v_sub_f16_e32 v69, v79, v85
	v_add_f16_e32 v27, v23, v27
	v_add_f16_e32 v23, v24, v26
	v_fma_f16 v86, v86, -0.5, v88
	v_fma_f16 v90, v90, -0.5, v65
	v_fma_f16 v73, v69, s4, v62
	v_fma_f16 v62, v69, s5, v62
	v_add_f16_e32 v88, v88, v5
	v_fma_f16 v23, v23, -0.5, v22
	v_sub_f16_e32 v5, v5, v35
	v_fma_f16 v68, v64, s5, v90
	v_mul_f16_e32 v82, -0.5, v73
	v_fma_f16 v64, v64, s4, v90
	v_add_f16_e32 v88, v88, v35
	v_fma_f16 v35, v5, s5, v23
	v_mul_f16_e32 v25, 0xbaee, v73
	v_fma_f16 v5, v5, s4, v23
	v_mul_f16_e32 v23, 0xbaee, v62
	v_add_f16_e32 v22, v22, v24
	v_sub_f16_e32 v39, v24, v26
	v_fma_f16 v82, v68, s5, v82
	v_mul_f16_e32 v69, 0.5, v62
	v_fma_f16 v68, v68, -0.5, v25
	v_fma_f16 v62, v64, 0.5, v23
	v_add_f16_e32 v26, v22, v26
	global_load_dwordx4 v[22:25], v[66:67], off offset:1400
	v_add_f16_e32 v65, v65, v79
	global_load_dword v66, v[66:67], off offset:1416
	v_add_f16_e32 v65, v65, v85
	v_fma_f16 v69, v64, s5, v69
	v_sub_f16_e32 v64, v5, v62
	v_sub_f16_e32 v79, v26, v65
	v_add_f16_e32 v62, v5, v62
	v_add_f16_e32 v26, v26, v65
	v_mul_f16_sdwa v5, v19, v59 dst_sel:DWORD dst_unused:UNUSED_PAD src0_sel:DWORD src1_sel:WORD_1
	v_mul_f16_sdwa v65, v21, v61 dst_sel:DWORD dst_unused:UNUSED_PAD src0_sel:DWORD src1_sel:WORD_1
	v_fma_f16 v63, v39, s4, v86
	v_fma_f16 v39, v39, s5, v86
	v_sub_f16_e32 v73, v35, v68
	v_add_f16_e32 v35, v35, v68
	ds_read_u16 v68, v0 offset:2880
	v_fma_f16 v5, v59, v80, -v5
	s_waitcnt lgkmcnt(2)
	v_fma_f16 v65, v61, v84, -v65
	v_sub_f16_e32 v86, v39, v69
	v_add_f16_e32 v39, v39, v69
	v_add_f16_e32 v69, v5, v65
	v_sub_f16_e32 v91, v63, v82
	v_add_f16_e32 v63, v63, v82
	s_waitcnt lgkmcnt(1)
	v_fma_f16 v67, v69, -0.5, v87
	v_mul_f16_sdwa v69, v80, v59 dst_sel:DWORD dst_unused:UNUSED_PAD src0_sel:DWORD src1_sel:WORD_1
	v_mul_f16_sdwa v80, v60, v74 dst_sel:DWORD dst_unused:UNUSED_PAD src0_sel:WORD_1 src1_sel:DWORD
	s_waitcnt vmcnt(2)
	v_mul_f16_sdwa v82, v38, v76 dst_sel:DWORD dst_unused:UNUSED_PAD src0_sel:WORD_1 src1_sel:DWORD
	v_fma_f16 v19, v19, v59, v69
	v_mul_f16_sdwa v69, v58, v70 dst_sel:DWORD dst_unused:UNUSED_PAD src0_sel:WORD_1 src1_sel:DWORD
	v_fma_f16 v80, v20, v60, v80
	v_fma_f16 v82, v18, v38, v82
	v_mul_f16_sdwa v20, v20, v60 dst_sel:DWORD dst_unused:UNUSED_PAD src0_sel:DWORD src1_sel:WORD_1
	v_mul_f16_sdwa v18, v18, v38 dst_sel:DWORD dst_unused:UNUSED_PAD src0_sel:DWORD src1_sel:WORD_1
	;; [unrolled: 1-line block ×3, first 2 shown]
	v_fma_f16 v69, v17, v58, v69
	v_fma_f16 v20, v60, v74, -v20
	v_fma_f16 v18, v38, v76, -v18
	v_mul_f16_sdwa v17, v17, v58 dst_sel:DWORD dst_unused:UNUSED_PAD src0_sel:DWORD src1_sel:WORD_1
	v_fma_f16 v21, v21, v61, v59
	v_add_f16_e32 v84, v80, v82
	v_fma_f16 v17, v58, v70, -v17
	v_add_f16_e32 v58, v20, v18
	v_fma_f16 v84, v84, -0.5, v69
	v_sub_f16_e32 v38, v20, v18
	v_fma_f16 v58, v58, -0.5, v17
	v_sub_f16_e32 v70, v80, v82
	v_add_f16_e32 v17, v17, v20
	v_add_f16_e32 v20, v19, v21
	v_fma_f16 v60, v38, s5, v84
	v_fma_f16 v74, v70, s4, v58
	;; [unrolled: 1-line block ×4, first 2 shown]
	v_add_f16_e32 v84, v87, v5
	v_fma_f16 v20, v20, -0.5, v15
	v_sub_f16_e32 v5, v5, v65
	v_sub_f16_e32 v59, v19, v21
	v_mul_f16_e32 v76, -0.5, v74
	v_add_f16_e32 v84, v84, v65
	v_fma_f16 v65, v5, s5, v20
	v_mul_f16_e32 v74, 0xbaee, v74
	v_fma_f16 v5, v5, s4, v20
	v_mul_f16_e32 v20, 0xbaee, v58
	v_add_f16_e32 v15, v15, v19
	v_add_f16_e32 v19, v69, v80
	v_fma_f16 v61, v59, s4, v67
	v_fma_f16 v76, v60, s5, v76
	v_fma_f16 v59, v59, s5, v67
	v_mul_f16_e32 v67, 0.5, v58
	v_fma_f16 v60, v60, -0.5, v74
	v_fma_f16 v20, v38, 0.5, v20
	v_add_f16_e32 v15, v15, v21
	v_add_f16_e32 v19, v19, v82
	ds_read_u16 v0, v0
	v_fma_f16 v67, v38, s5, v67
	v_sub_f16_e32 v74, v65, v60
	v_sub_f16_e32 v38, v5, v20
	;; [unrolled: 1-line block ×3, first 2 shown]
	v_add_f16_e32 v60, v65, v60
	v_add_f16_e32 v20, v5, v20
	;; [unrolled: 1-line block ×3, first 2 shown]
	s_waitcnt vmcnt(1)
	v_mul_f16_sdwa v5, v16, v23 dst_sel:DWORD dst_unused:UNUSED_PAD src0_sel:DWORD src1_sel:WORD_1
	v_mul_f16_sdwa v19, v12, v25 dst_sel:DWORD dst_unused:UNUSED_PAD src0_sel:DWORD src1_sel:WORD_1
	;; [unrolled: 1-line block ×3, first 2 shown]
	v_sub_f16_e32 v70, v59, v67
	v_add_f16_e32 v59, v59, v67
	v_fma_f16 v5, v23, v81, -v5
	s_waitcnt lgkmcnt(1)
	v_fma_f16 v19, v25, v68, -v19
	v_fma_f16 v16, v16, v23, v65
	v_mul_f16_sdwa v23, v68, v25 dst_sel:DWORD dst_unused:UNUSED_PAD src0_sel:DWORD src1_sel:WORD_1
	v_mul_f16_sdwa v67, v24, v75 dst_sel:DWORD dst_unused:UNUSED_PAD src0_sel:WORD_1 src1_sel:DWORD
	s_waitcnt vmcnt(0)
	v_mul_f16_sdwa v68, v66, v77 dst_sel:DWORD dst_unused:UNUSED_PAD src0_sel:WORD_1 src1_sel:DWORD
	v_mul_f16_sdwa v65, v22, v71 dst_sel:DWORD dst_unused:UNUSED_PAD src0_sel:WORD_1 src1_sel:DWORD
	v_fma_f16 v67, v13, v24, v67
	v_fma_f16 v68, v14, v66, v68
	v_mul_f16_sdwa v13, v13, v24 dst_sel:DWORD dst_unused:UNUSED_PAD src0_sel:DWORD src1_sel:WORD_1
	v_mul_f16_sdwa v14, v14, v66 dst_sel:DWORD dst_unused:UNUSED_PAD src0_sel:DWORD src1_sel:WORD_1
	v_fma_f16 v65, v11, v22, v65
	v_fma_f16 v13, v24, v75, -v13
	v_fma_f16 v14, v66, v77, -v14
	v_mul_f16_sdwa v11, v11, v22 dst_sel:DWORD dst_unused:UNUSED_PAD src0_sel:DWORD src1_sel:WORD_1
	v_sub_f16_e32 v85, v61, v76
	v_add_f16_e32 v58, v61, v76
	v_add_f16_e32 v61, v5, v19
	v_fma_f16 v11, v22, v71, -v11
	v_add_f16_e32 v22, v13, v14
	s_waitcnt lgkmcnt(0)
	v_fma_f16 v61, v61, -0.5, v0
	v_fma_f16 v22, v22, -0.5, v11
	v_add_f16_e32 v0, v0, v5
	v_add_f16_e32 v11, v11, v13
	;; [unrolled: 1-line block ×4, first 2 shown]
	v_sub_f16_e32 v24, v13, v14
	v_sub_f16_e32 v13, v0, v11
	v_add_f16_e32 v11, v0, v11
	v_lshrrev_b32_e32 v0, 3, v9
	v_mul_hi_u32 v0, v0, s0
	v_fma_f16 v12, v12, v25, v23
	v_add_f16_e32 v14, v16, v12
	v_fma_f16 v14, v14, -0.5, v10
	v_add_f16_e32 v10, v10, v16
	v_sub_f16_e32 v23, v16, v12
	v_add_f16_e32 v10, v10, v12
	v_add_f16_e32 v12, v65, v67
	v_lshrrev_b32_e32 v0, 2, v0
	v_add_f16_e32 v12, v12, v68
	v_mul_u32_u24_e32 v0, 0x168, v0
	v_sub_f16_e32 v16, v10, v12
	v_add_f16_e32 v10, v10, v12
	v_sub_u32_e32 v12, v9, v0
	v_mov_b32_e32 v0, s11
	v_addc_co_u32_e32 v4, vcc, v0, v4, vcc
	v_lshlrev_b64 v[0:1], 2, v[1:2]
	v_add_f16_e32 v69, v67, v68
	v_sub_f16_e32 v71, v67, v68
	v_fma_f16 v69, v69, -0.5, v65
	v_fma_f16 v75, v71, s4, v22
	v_fma_f16 v22, v71, s5, v22
	v_sub_f16_e32 v5, v5, v19
	v_add_co_u32_e32 v2, vcc, v3, v0
	v_fma_f16 v25, v23, s4, v61
	v_fma_f16 v66, v24, s5, v69
	;; [unrolled: 1-line block ×4, first 2 shown]
	v_mul_f16_e32 v61, 0.5, v22
	v_fma_f16 v19, v5, s5, v14
	v_fma_f16 v5, v5, s4, v14
	v_mul_f16_e32 v14, 0xbaee, v22
	v_addc_co_u32_e32 v3, vcc, v4, v1, vcc
	v_lshlrev_b32_e32 v0, 2, v12
	v_mul_f16_e32 v76, -0.5, v75
	v_fma_f16 v61, v24, s5, v61
	v_mul_f16_e32 v71, 0xbaee, v75
	v_fma_f16 v14, v24, 0.5, v14
	v_add_co_u32_e32 v0, vcc, v2, v0
	v_fma_f16 v76, v66, s5, v76
	v_sub_f16_e32 v69, v23, v61
	v_fma_f16 v66, v66, -0.5, v71
	v_sub_f16_e32 v22, v5, v14
	v_add_f16_e32 v23, v23, v61
	v_add_f16_e32 v5, v5, v14
	v_addc_co_u32_e32 v1, vcc, 0, v3, vcc
	v_pack_b32_f16 v4, v10, v11
	v_sub_f16_e32 v71, v19, v66
	v_add_f16_e32 v24, v25, v76
	v_add_f16_e32 v19, v19, v66
	global_store_dword v[0:1], v4, off
	v_pack_b32_f16 v4, v5, v23
	v_add_u32_e32 v5, 60, v9
	global_store_dword v[0:1], v4, off offset:1440
	v_pack_b32_f16 v4, v19, v24
	v_lshrrev_b32_e32 v10, 3, v5
	global_store_dword v[0:1], v4, off offset:2880
	v_add_co_u32_e32 v0, vcc, s1, v0
	v_mul_hi_u32 v10, v10, s0
	v_pack_b32_f16 v4, v16, v13
	v_addc_co_u32_e32 v1, vcc, 0, v1, vcc
	v_sub_f16_e32 v77, v25, v76
	global_store_dword v[0:1], v4, off offset:224
	v_pack_b32_f16 v4, v22, v69
	global_store_dword v[0:1], v4, off offset:1664
	v_pack_b32_f16 v4, v71, v77
	global_store_dword v[0:1], v4, off offset:3104
	v_lshrrev_b32_e32 v0, 2, v10
	v_mul_u32_u24_e32 v1, 0x168, v0
	v_sub_u32_e32 v1, v5, v1
	s_movk_i32 s1, 0x870
	v_mad_u32_u24 v5, v0, s1, v1
	v_lshlrev_b64 v[0:1], 2, v[5:6]
	v_add_f16_e32 v17, v17, v18
	v_sub_f16_e32 v18, v84, v17
	v_add_f16_e32 v17, v84, v17
	v_add_co_u32_e32 v0, vcc, v2, v0
	v_addc_co_u32_e32 v1, vcc, v3, v1, vcc
	v_pack_b32_f16 v4, v15, v17
	global_store_dword v[0:1], v4, off
	v_add_u32_e32 v0, 0x168, v5
	v_mov_b32_e32 v1, v6
	v_lshlrev_b64 v[0:1], 2, v[0:1]
	v_pack_b32_f16 v4, v20, v59
	v_add_co_u32_e32 v0, vcc, v2, v0
	v_addc_co_u32_e32 v1, vcc, v3, v1, vcc
	global_store_dword v[0:1], v4, off
	v_add_u32_e32 v0, 0x2d0, v5
	v_mov_b32_e32 v1, v6
	v_lshlrev_b64 v[0:1], 2, v[0:1]
	v_pack_b32_f16 v4, v60, v58
	v_add_co_u32_e32 v0, vcc, v2, v0
	v_addc_co_u32_e32 v1, vcc, v3, v1, vcc
	;; [unrolled: 7-line block ×4, first 2 shown]
	global_store_dword v[0:1], v4, off
	v_add_u32_e32 v5, 0x708, v5
	v_add_u32_e32 v4, 0x78, v9
	v_lshlrev_b64 v[0:1], 2, v[5:6]
	v_lshrrev_b32_e32 v5, 3, v4
	v_mul_hi_u32 v5, v5, s0
	v_add_co_u32_e32 v0, vcc, v2, v0
	v_addc_co_u32_e32 v1, vcc, v3, v1, vcc
	v_pack_b32_f16 v10, v74, v85
	global_store_dword v[0:1], v10, off
	v_lshrrev_b32_e32 v0, 2, v5
	v_mul_u32_u24_e32 v1, 0x168, v0
	v_sub_u32_e32 v1, v4, v1
	v_mad_u32_u24 v5, v0, s1, v1
	v_lshlrev_b64 v[0:1], 2, v[5:6]
	v_sub_f16_e32 v90, v88, v27
	v_add_f16_e32 v27, v88, v27
	v_add_co_u32_e32 v0, vcc, v2, v0
	v_addc_co_u32_e32 v1, vcc, v3, v1, vcc
	v_pack_b32_f16 v4, v26, v27
	global_store_dword v[0:1], v4, off
	v_add_u32_e32 v0, 0x168, v5
	v_mov_b32_e32 v1, v6
	v_lshlrev_b64 v[0:1], 2, v[0:1]
	v_pack_b32_f16 v4, v62, v39
	v_add_co_u32_e32 v0, vcc, v2, v0
	v_addc_co_u32_e32 v1, vcc, v3, v1, vcc
	global_store_dword v[0:1], v4, off
	v_add_u32_e32 v0, 0x2d0, v5
	v_mov_b32_e32 v1, v6
	v_lshlrev_b64 v[0:1], 2, v[0:1]
	v_pack_b32_f16 v4, v35, v63
	v_add_co_u32_e32 v0, vcc, v2, v0
	v_addc_co_u32_e32 v1, vcc, v3, v1, vcc
	global_store_dword v[0:1], v4, off
	v_add_u32_e32 v0, 0x438, v5
	v_mov_b32_e32 v1, v6
	v_lshlrev_b64 v[0:1], 2, v[0:1]
	v_pack_b32_f16 v4, v79, v90
	v_add_co_u32_e32 v0, vcc, v2, v0
	v_addc_co_u32_e32 v1, vcc, v3, v1, vcc
	global_store_dword v[0:1], v4, off
	v_add_u32_e32 v0, 0x5a0, v5
	v_mov_b32_e32 v1, v6
	v_lshlrev_b64 v[0:1], 2, v[0:1]
	v_pack_b32_f16 v4, v64, v86
	v_add_co_u32_e32 v0, vcc, v2, v0
	v_addc_co_u32_e32 v1, vcc, v3, v1, vcc
	global_store_dword v[0:1], v4, off
	v_add_u32_e32 v5, 0x708, v5
	v_add_u32_e32 v4, 0xb4, v9
	v_lshlrev_b64 v[0:1], 2, v[5:6]
	v_lshrrev_b32_e32 v5, 3, v4
	v_mul_hi_u32 v5, v5, s0
	v_add_co_u32_e32 v0, vcc, v2, v0
	v_addc_co_u32_e32 v1, vcc, v3, v1, vcc
	v_pack_b32_f16 v10, v73, v91
	global_store_dword v[0:1], v10, off
	v_lshrrev_b32_e32 v0, 2, v5
	v_mul_u32_u24_e32 v1, 0x168, v0
	v_sub_u32_e32 v1, v4, v1
	v_mad_u32_u24 v5, v0, s1, v1
	v_lshlrev_b64 v[0:1], 2, v[5:6]
	v_pack_b32_f16 v4, v28, v33
	v_add_co_u32_e32 v0, vcc, v2, v0
	v_addc_co_u32_e32 v1, vcc, v3, v1, vcc
	global_store_dword v[0:1], v4, off
	v_add_u32_e32 v0, 0x168, v5
	v_mov_b32_e32 v1, v6
	v_lshlrev_b64 v[0:1], 2, v[0:1]
	v_pack_b32_f16 v4, v83, v78
	v_add_co_u32_e32 v0, vcc, v2, v0
	v_addc_co_u32_e32 v1, vcc, v3, v1, vcc
	global_store_dword v[0:1], v4, off
	v_add_u32_e32 v0, 0x2d0, v5
	v_mov_b32_e32 v1, v6
	v_lshlrev_b64 v[0:1], 2, v[0:1]
	v_pack_b32_f16 v4, v72, v46
	v_add_co_u32_e32 v0, vcc, v2, v0
	v_addc_co_u32_e32 v1, vcc, v3, v1, vcc
	global_store_dword v[0:1], v4, off
	v_add_u32_e32 v0, 0x438, v5
	v_mov_b32_e32 v1, v6
	v_lshlrev_b64 v[0:1], 2, v[0:1]
	v_pack_b32_f16 v4, v7, v40
	v_add_co_u32_e32 v0, vcc, v2, v0
	v_addc_co_u32_e32 v1, vcc, v3, v1, vcc
	global_store_dword v[0:1], v4, off
	v_add_u32_e32 v0, 0x5a0, v5
	v_mov_b32_e32 v1, v6
	v_lshlrev_b64 v[0:1], 2, v[0:1]
	v_pack_b32_f16 v4, v97, v93
	v_add_co_u32_e32 v0, vcc, v2, v0
	v_addc_co_u32_e32 v1, vcc, v3, v1, vcc
	global_store_dword v[0:1], v4, off
	v_add_u32_e32 v5, 0x708, v5
	v_add_u32_e32 v4, 0xf0, v9
	v_lshlrev_b64 v[0:1], 2, v[5:6]
	v_lshrrev_b32_e32 v5, 3, v4
	v_mul_hi_u32 v5, v5, s0
	v_add_co_u32_e32 v0, vcc, v2, v0
	v_addc_co_u32_e32 v1, vcc, v3, v1, vcc
	v_pack_b32_f16 v7, v89, v94
	global_store_dword v[0:1], v7, off
	v_lshrrev_b32_e32 v0, 2, v5
	v_mul_u32_u24_e32 v1, 0x168, v0
	v_sub_u32_e32 v1, v4, v1
	v_mad_u32_u24 v5, v0, s1, v1
	v_lshlrev_b64 v[0:1], 2, v[5:6]
	v_pack_b32_f16 v4, v57, v56
	v_add_co_u32_e32 v0, vcc, v2, v0
	v_addc_co_u32_e32 v1, vcc, v3, v1, vcc
	;; [unrolled: 46-line block ×3, first 2 shown]
	global_store_dword v[0:1], v4, off
	v_add_u32_e32 v0, 0x168, v5
	v_mov_b32_e32 v1, v6
	v_lshlrev_b64 v[0:1], 2, v[0:1]
	v_pack_b32_f16 v4, v42, v41
	v_add_co_u32_e32 v0, vcc, v2, v0
	v_addc_co_u32_e32 v1, vcc, v3, v1, vcc
	global_store_dword v[0:1], v4, off
	v_add_u32_e32 v0, 0x2d0, v5
	v_mov_b32_e32 v1, v6
	v_lshlrev_b64 v[0:1], 2, v[0:1]
	v_pack_b32_f16 v4, v37, v36
	v_add_co_u32_e32 v0, vcc, v2, v0
	v_addc_co_u32_e32 v1, vcc, v3, v1, vcc
	;; [unrolled: 7-line block ×4, first 2 shown]
	v_add_u32_e32 v5, 0x708, v5
	global_store_dword v[0:1], v4, off
	v_lshlrev_b64 v[0:1], 2, v[5:6]
	v_add_co_u32_e32 v0, vcc, v2, v0
	v_addc_co_u32_e32 v1, vcc, v3, v1, vcc
	v_pack_b32_f16 v2, v30, v8
	global_store_dword v[0:1], v2, off
.LBB0_21:
	s_endpgm
	.section	.rodata,"a",@progbits
	.p2align	6, 0x0
	.amdhsa_kernel fft_rtc_back_len2160_factors_10_6_6_6_wgs_60_tpt_60_halfLds_half_op_CI_CI_unitstride_sbrr_dirReg
		.amdhsa_group_segment_fixed_size 0
		.amdhsa_private_segment_fixed_size 0
		.amdhsa_kernarg_size 104
		.amdhsa_user_sgpr_count 6
		.amdhsa_user_sgpr_private_segment_buffer 1
		.amdhsa_user_sgpr_dispatch_ptr 0
		.amdhsa_user_sgpr_queue_ptr 0
		.amdhsa_user_sgpr_kernarg_segment_ptr 1
		.amdhsa_user_sgpr_dispatch_id 0
		.amdhsa_user_sgpr_flat_scratch_init 0
		.amdhsa_user_sgpr_private_segment_size 0
		.amdhsa_uses_dynamic_stack 0
		.amdhsa_system_sgpr_private_segment_wavefront_offset 0
		.amdhsa_system_sgpr_workgroup_id_x 1
		.amdhsa_system_sgpr_workgroup_id_y 0
		.amdhsa_system_sgpr_workgroup_id_z 0
		.amdhsa_system_sgpr_workgroup_info 0
		.amdhsa_system_vgpr_workitem_id 0
		.amdhsa_next_free_vgpr 133
		.amdhsa_next_free_sgpr 28
		.amdhsa_reserve_vcc 1
		.amdhsa_reserve_flat_scratch 0
		.amdhsa_float_round_mode_32 0
		.amdhsa_float_round_mode_16_64 0
		.amdhsa_float_denorm_mode_32 3
		.amdhsa_float_denorm_mode_16_64 3
		.amdhsa_dx10_clamp 1
		.amdhsa_ieee_mode 1
		.amdhsa_fp16_overflow 0
		.amdhsa_exception_fp_ieee_invalid_op 0
		.amdhsa_exception_fp_denorm_src 0
		.amdhsa_exception_fp_ieee_div_zero 0
		.amdhsa_exception_fp_ieee_overflow 0
		.amdhsa_exception_fp_ieee_underflow 0
		.amdhsa_exception_fp_ieee_inexact 0
		.amdhsa_exception_int_div_zero 0
	.end_amdhsa_kernel
	.text
.Lfunc_end0:
	.size	fft_rtc_back_len2160_factors_10_6_6_6_wgs_60_tpt_60_halfLds_half_op_CI_CI_unitstride_sbrr_dirReg, .Lfunc_end0-fft_rtc_back_len2160_factors_10_6_6_6_wgs_60_tpt_60_halfLds_half_op_CI_CI_unitstride_sbrr_dirReg
                                        ; -- End function
	.section	.AMDGPU.csdata,"",@progbits
; Kernel info:
; codeLenInByte = 19576
; NumSgprs: 32
; NumVgprs: 133
; ScratchSize: 0
; MemoryBound: 0
; FloatMode: 240
; IeeeMode: 1
; LDSByteSize: 0 bytes/workgroup (compile time only)
; SGPRBlocks: 3
; VGPRBlocks: 33
; NumSGPRsForWavesPerEU: 32
; NumVGPRsForWavesPerEU: 133
; Occupancy: 1
; WaveLimiterHint : 1
; COMPUTE_PGM_RSRC2:SCRATCH_EN: 0
; COMPUTE_PGM_RSRC2:USER_SGPR: 6
; COMPUTE_PGM_RSRC2:TRAP_HANDLER: 0
; COMPUTE_PGM_RSRC2:TGID_X_EN: 1
; COMPUTE_PGM_RSRC2:TGID_Y_EN: 0
; COMPUTE_PGM_RSRC2:TGID_Z_EN: 0
; COMPUTE_PGM_RSRC2:TIDIG_COMP_CNT: 0
	.type	__hip_cuid_6cb017bf99a46012,@object ; @__hip_cuid_6cb017bf99a46012
	.section	.bss,"aw",@nobits
	.globl	__hip_cuid_6cb017bf99a46012
__hip_cuid_6cb017bf99a46012:
	.byte	0                               ; 0x0
	.size	__hip_cuid_6cb017bf99a46012, 1

	.ident	"AMD clang version 19.0.0git (https://github.com/RadeonOpenCompute/llvm-project roc-6.4.0 25133 c7fe45cf4b819c5991fe208aaa96edf142730f1d)"
	.section	".note.GNU-stack","",@progbits
	.addrsig
	.addrsig_sym __hip_cuid_6cb017bf99a46012
	.amdgpu_metadata
---
amdhsa.kernels:
  - .args:
      - .actual_access:  read_only
        .address_space:  global
        .offset:         0
        .size:           8
        .value_kind:     global_buffer
      - .offset:         8
        .size:           8
        .value_kind:     by_value
      - .actual_access:  read_only
        .address_space:  global
        .offset:         16
        .size:           8
        .value_kind:     global_buffer
      - .actual_access:  read_only
        .address_space:  global
        .offset:         24
        .size:           8
        .value_kind:     global_buffer
      - .actual_access:  read_only
        .address_space:  global
        .offset:         32
        .size:           8
        .value_kind:     global_buffer
      - .offset:         40
        .size:           8
        .value_kind:     by_value
      - .actual_access:  read_only
        .address_space:  global
        .offset:         48
        .size:           8
        .value_kind:     global_buffer
      - .actual_access:  read_only
        .address_space:  global
        .offset:         56
        .size:           8
        .value_kind:     global_buffer
      - .offset:         64
        .size:           4
        .value_kind:     by_value
      - .actual_access:  read_only
        .address_space:  global
        .offset:         72
        .size:           8
        .value_kind:     global_buffer
      - .actual_access:  read_only
        .address_space:  global
        .offset:         80
        .size:           8
        .value_kind:     global_buffer
      - .actual_access:  read_only
        .address_space:  global
        .offset:         88
        .size:           8
        .value_kind:     global_buffer
      - .actual_access:  write_only
        .address_space:  global
        .offset:         96
        .size:           8
        .value_kind:     global_buffer
    .group_segment_fixed_size: 0
    .kernarg_segment_align: 8
    .kernarg_segment_size: 104
    .language:       OpenCL C
    .language_version:
      - 2
      - 0
    .max_flat_workgroup_size: 60
    .name:           fft_rtc_back_len2160_factors_10_6_6_6_wgs_60_tpt_60_halfLds_half_op_CI_CI_unitstride_sbrr_dirReg
    .private_segment_fixed_size: 0
    .sgpr_count:     32
    .sgpr_spill_count: 0
    .symbol:         fft_rtc_back_len2160_factors_10_6_6_6_wgs_60_tpt_60_halfLds_half_op_CI_CI_unitstride_sbrr_dirReg.kd
    .uniform_work_group_size: 1
    .uses_dynamic_stack: false
    .vgpr_count:     133
    .vgpr_spill_count: 0
    .wavefront_size: 64
amdhsa.target:   amdgcn-amd-amdhsa--gfx906
amdhsa.version:
  - 1
  - 2
...

	.end_amdgpu_metadata
